;; amdgpu-corpus repo=ROCm/composable_kernel kind=compiled arch=gfx1201 opt=O3
	.amdgcn_target "amdgcn-amd-amdhsa--gfx1201"
	.amdhsa_code_object_version 6
	.section	.text._ZN2ckL12flush_icacheEv,"axG",@progbits,_ZN2ckL12flush_icacheEv,comdat
	.globl	_ZN2ckL12flush_icacheEv         ; -- Begin function _ZN2ckL12flush_icacheEv
	.p2align	8
	.type	_ZN2ckL12flush_icacheEv,@function
_ZN2ckL12flush_icacheEv:                ; @_ZN2ckL12flush_icacheEv
; %bb.0:
	;;#ASMSTART
	s_icache_inv 
	s_nop 0 
	s_nop 0 
	;; [unrolled: 1-line block ×16, first 2 shown]
	
	;;#ASMEND
	s_endpgm
	.section	.rodata,"a",@progbits
	.p2align	6, 0x0
	.amdhsa_kernel _ZN2ckL12flush_icacheEv
		.amdhsa_group_segment_fixed_size 0
		.amdhsa_private_segment_fixed_size 0
		.amdhsa_kernarg_size 0
		.amdhsa_user_sgpr_count 0
		.amdhsa_user_sgpr_dispatch_ptr 0
		.amdhsa_user_sgpr_queue_ptr 0
		.amdhsa_user_sgpr_kernarg_segment_ptr 0
		.amdhsa_user_sgpr_dispatch_id 0
		.amdhsa_user_sgpr_private_segment_size 0
		.amdhsa_wavefront_size32 1
		.amdhsa_uses_dynamic_stack 0
		.amdhsa_enable_private_segment 0
		.amdhsa_system_sgpr_workgroup_id_x 1
		.amdhsa_system_sgpr_workgroup_id_y 0
		.amdhsa_system_sgpr_workgroup_id_z 0
		.amdhsa_system_sgpr_workgroup_info 0
		.amdhsa_system_vgpr_workitem_id 0
		.amdhsa_next_free_vgpr 1
		.amdhsa_next_free_sgpr 1
		.amdhsa_reserve_vcc 0
		.amdhsa_float_round_mode_32 0
		.amdhsa_float_round_mode_16_64 0
		.amdhsa_float_denorm_mode_32 3
		.amdhsa_float_denorm_mode_16_64 3
		.amdhsa_fp16_overflow 0
		.amdhsa_workgroup_processor_mode 1
		.amdhsa_memory_ordered 1
		.amdhsa_forward_progress 1
		.amdhsa_inst_pref_size 1
		.amdhsa_round_robin_scheduling 0
		.amdhsa_exception_fp_ieee_invalid_op 0
		.amdhsa_exception_fp_denorm_src 0
		.amdhsa_exception_fp_ieee_div_zero 0
		.amdhsa_exception_fp_ieee_overflow 0
		.amdhsa_exception_fp_ieee_underflow 0
		.amdhsa_exception_fp_ieee_inexact 0
		.amdhsa_exception_int_div_zero 0
	.end_amdhsa_kernel
	.section	.text._ZN2ckL12flush_icacheEv,"axG",@progbits,_ZN2ckL12flush_icacheEv,comdat
.Lfunc_end0:
	.size	_ZN2ckL12flush_icacheEv, .Lfunc_end0-_ZN2ckL12flush_icacheEv
                                        ; -- End function
	.set _ZN2ckL12flush_icacheEv.num_vgpr, 0
	.set _ZN2ckL12flush_icacheEv.num_agpr, 0
	.set _ZN2ckL12flush_icacheEv.numbered_sgpr, 0
	.set _ZN2ckL12flush_icacheEv.num_named_barrier, 0
	.set _ZN2ckL12flush_icacheEv.private_seg_size, 0
	.set _ZN2ckL12flush_icacheEv.uses_vcc, 0
	.set _ZN2ckL12flush_icacheEv.uses_flat_scratch, 0
	.set _ZN2ckL12flush_icacheEv.has_dyn_sized_stack, 0
	.set _ZN2ckL12flush_icacheEv.has_recursion, 0
	.set _ZN2ckL12flush_icacheEv.has_indirect_call, 0
	.section	.AMDGPU.csdata,"",@progbits
; Kernel info:
; codeLenInByte = 4
; TotalNumSgprs: 0
; NumVgprs: 0
; ScratchSize: 0
; MemoryBound: 0
; FloatMode: 240
; IeeeMode: 1
; LDSByteSize: 0 bytes/workgroup (compile time only)
; SGPRBlocks: 0
; VGPRBlocks: 0
; NumSGPRsForWavesPerEU: 1
; NumVGPRsForWavesPerEU: 1
; Occupancy: 16
; WaveLimiterHint : 0
; COMPUTE_PGM_RSRC2:SCRATCH_EN: 0
; COMPUTE_PGM_RSRC2:USER_SGPR: 0
; COMPUTE_PGM_RSRC2:TRAP_HANDLER: 0
; COMPUTE_PGM_RSRC2:TGID_X_EN: 1
; COMPUTE_PGM_RSRC2:TGID_Y_EN: 0
; COMPUTE_PGM_RSRC2:TGID_Z_EN: 0
; COMPUTE_PGM_RSRC2:TIDIG_COMP_CNT: 0
	.section	.text._ZN2ck35kernel_gemm_multiple_d_xdl_cshuffleINS_34GridwiseGemmMultipleD_xdl_cshuffleIDF16_DF16_DF16_ffNS_5TupleIJDF16_EEEDF16_NS_16tensor_operation12element_wise11PassThroughES6_12AlphaBetaAddLi1ELi256ELi256ELi128ELi32ELi8ELi8ELi16ELi16ELi8ELi4ENS_8SequenceIJLi4ELi64ELi1EEEENS8_IJLi1ELi0ELi2EEEESA_Li2ELi8ELi8ELb0ELi1ES9_SA_SA_Li2ELi8ELi8ELb0ELi1ELi1ELi1ENS8_IJLi1ELi32ELi1ELi8EEEELi4ELNS_13LoopSchedulerE0ELNS_15PipelineVersionE0EDF16_Lb0EEEDF16_DF16_NS2_IJPKDF16_EEEDF16_S6_S6_S7_NS_16TensorDescriptorINS2_IJNS_5EmbedINS2_IJiiEEENS2_IJiNS_17integral_constantIiLi1EEEEEELb0EEENS_8RightPadIiiLb0EEESQ_NS_7UnMergeINS2_IJiNSL_IiLi8EEEEEELb0EEENS_11PassThroughIiEEEEENS2_IJNS8_IJLi0EEEENS8_IJLi1EEEENS8_IJLi2EEEENS8_IJLi4EEEENS8_IJLi3EEEEEEENS2_IJNS8_IJLi1ELi2EEEES12_S11_NS8_IJLi5ELi6EEEENS8_IJLi7EEEEEEENS8_IJLi5ELi7ELi6EEEElEES19_NS2_IJNSI_INS2_IJSO_SQ_SQ_NSR_INS2_IJiNSL_IiLi256EEEEEELb0EEENSR_INS2_IJiNSL_IiLi128EEEEEELb0EEEEEENS2_IJSY_SZ_S10_S12_S11_EEENS2_IJS14_S12_S11_S15_NS8_IJLi7ELi8EEEEEEENS8_IJLi5ELi6ELi7ELi8EEEElEEEEES1L_NS_31BlockToCTileMap_M00_N0_M01AdaptILi256ELi128ENSI_INS2_IJSO_SQ_SQ_EEENS2_IJSY_SZ_S10_EEENS2_IJS14_S12_S11_EEENS8_IJLi3ELi4EEEElEEiEELb1EEEvPKT0_PKT1_T2_PT3_T4_T5_T6_T7_T8_T9_T10_T11_,"axG",@progbits,_ZN2ck35kernel_gemm_multiple_d_xdl_cshuffleINS_34GridwiseGemmMultipleD_xdl_cshuffleIDF16_DF16_DF16_ffNS_5TupleIJDF16_EEEDF16_NS_16tensor_operation12element_wise11PassThroughES6_12AlphaBetaAddLi1ELi256ELi256ELi128ELi32ELi8ELi8ELi16ELi16ELi8ELi4ENS_8SequenceIJLi4ELi64ELi1EEEENS8_IJLi1ELi0ELi2EEEESA_Li2ELi8ELi8ELb0ELi1ES9_SA_SA_Li2ELi8ELi8ELb0ELi1ELi1ELi1ENS8_IJLi1ELi32ELi1ELi8EEEELi4ELNS_13LoopSchedulerE0ELNS_15PipelineVersionE0EDF16_Lb0EEEDF16_DF16_NS2_IJPKDF16_EEEDF16_S6_S6_S7_NS_16TensorDescriptorINS2_IJNS_5EmbedINS2_IJiiEEENS2_IJiNS_17integral_constantIiLi1EEEEEELb0EEENS_8RightPadIiiLb0EEESQ_NS_7UnMergeINS2_IJiNSL_IiLi8EEEEEELb0EEENS_11PassThroughIiEEEEENS2_IJNS8_IJLi0EEEENS8_IJLi1EEEENS8_IJLi2EEEENS8_IJLi4EEEENS8_IJLi3EEEEEEENS2_IJNS8_IJLi1ELi2EEEES12_S11_NS8_IJLi5ELi6EEEENS8_IJLi7EEEEEEENS8_IJLi5ELi7ELi6EEEElEES19_NS2_IJNSI_INS2_IJSO_SQ_SQ_NSR_INS2_IJiNSL_IiLi256EEEEEELb0EEENSR_INS2_IJiNSL_IiLi128EEEEEELb0EEEEEENS2_IJSY_SZ_S10_S12_S11_EEENS2_IJS14_S12_S11_S15_NS8_IJLi7ELi8EEEEEEENS8_IJLi5ELi6ELi7ELi8EEEElEEEEES1L_NS_31BlockToCTileMap_M00_N0_M01AdaptILi256ELi128ENSI_INS2_IJSO_SQ_SQ_EEENS2_IJSY_SZ_S10_EEENS2_IJS14_S12_S11_EEENS8_IJLi3ELi4EEEElEEiEELb1EEEvPKT0_PKT1_T2_PT3_T4_T5_T6_T7_T8_T9_T10_T11_,comdat
	.protected	_ZN2ck35kernel_gemm_multiple_d_xdl_cshuffleINS_34GridwiseGemmMultipleD_xdl_cshuffleIDF16_DF16_DF16_ffNS_5TupleIJDF16_EEEDF16_NS_16tensor_operation12element_wise11PassThroughES6_12AlphaBetaAddLi1ELi256ELi256ELi128ELi32ELi8ELi8ELi16ELi16ELi8ELi4ENS_8SequenceIJLi4ELi64ELi1EEEENS8_IJLi1ELi0ELi2EEEESA_Li2ELi8ELi8ELb0ELi1ES9_SA_SA_Li2ELi8ELi8ELb0ELi1ELi1ELi1ENS8_IJLi1ELi32ELi1ELi8EEEELi4ELNS_13LoopSchedulerE0ELNS_15PipelineVersionE0EDF16_Lb0EEEDF16_DF16_NS2_IJPKDF16_EEEDF16_S6_S6_S7_NS_16TensorDescriptorINS2_IJNS_5EmbedINS2_IJiiEEENS2_IJiNS_17integral_constantIiLi1EEEEEELb0EEENS_8RightPadIiiLb0EEESQ_NS_7UnMergeINS2_IJiNSL_IiLi8EEEEEELb0EEENS_11PassThroughIiEEEEENS2_IJNS8_IJLi0EEEENS8_IJLi1EEEENS8_IJLi2EEEENS8_IJLi4EEEENS8_IJLi3EEEEEEENS2_IJNS8_IJLi1ELi2EEEES12_S11_NS8_IJLi5ELi6EEEENS8_IJLi7EEEEEEENS8_IJLi5ELi7ELi6EEEElEES19_NS2_IJNSI_INS2_IJSO_SQ_SQ_NSR_INS2_IJiNSL_IiLi256EEEEEELb0EEENSR_INS2_IJiNSL_IiLi128EEEEEELb0EEEEEENS2_IJSY_SZ_S10_S12_S11_EEENS2_IJS14_S12_S11_S15_NS8_IJLi7ELi8EEEEEEENS8_IJLi5ELi6ELi7ELi8EEEElEEEEES1L_NS_31BlockToCTileMap_M00_N0_M01AdaptILi256ELi128ENSI_INS2_IJSO_SQ_SQ_EEENS2_IJSY_SZ_S10_EEENS2_IJS14_S12_S11_EEENS8_IJLi3ELi4EEEElEEiEELb1EEEvPKT0_PKT1_T2_PT3_T4_T5_T6_T7_T8_T9_T10_T11_ ; -- Begin function _ZN2ck35kernel_gemm_multiple_d_xdl_cshuffleINS_34GridwiseGemmMultipleD_xdl_cshuffleIDF16_DF16_DF16_ffNS_5TupleIJDF16_EEEDF16_NS_16tensor_operation12element_wise11PassThroughES6_12AlphaBetaAddLi1ELi256ELi256ELi128ELi32ELi8ELi8ELi16ELi16ELi8ELi4ENS_8SequenceIJLi4ELi64ELi1EEEENS8_IJLi1ELi0ELi2EEEESA_Li2ELi8ELi8ELb0ELi1ES9_SA_SA_Li2ELi8ELi8ELb0ELi1ELi1ELi1ENS8_IJLi1ELi32ELi1ELi8EEEELi4ELNS_13LoopSchedulerE0ELNS_15PipelineVersionE0EDF16_Lb0EEEDF16_DF16_NS2_IJPKDF16_EEEDF16_S6_S6_S7_NS_16TensorDescriptorINS2_IJNS_5EmbedINS2_IJiiEEENS2_IJiNS_17integral_constantIiLi1EEEEEELb0EEENS_8RightPadIiiLb0EEESQ_NS_7UnMergeINS2_IJiNSL_IiLi8EEEEEELb0EEENS_11PassThroughIiEEEEENS2_IJNS8_IJLi0EEEENS8_IJLi1EEEENS8_IJLi2EEEENS8_IJLi4EEEENS8_IJLi3EEEEEEENS2_IJNS8_IJLi1ELi2EEEES12_S11_NS8_IJLi5ELi6EEEENS8_IJLi7EEEEEEENS8_IJLi5ELi7ELi6EEEElEES19_NS2_IJNSI_INS2_IJSO_SQ_SQ_NSR_INS2_IJiNSL_IiLi256EEEEEELb0EEENSR_INS2_IJiNSL_IiLi128EEEEEELb0EEEEEENS2_IJSY_SZ_S10_S12_S11_EEENS2_IJS14_S12_S11_S15_NS8_IJLi7ELi8EEEEEEENS8_IJLi5ELi6ELi7ELi8EEEElEEEEES1L_NS_31BlockToCTileMap_M00_N0_M01AdaptILi256ELi128ENSI_INS2_IJSO_SQ_SQ_EEENS2_IJSY_SZ_S10_EEENS2_IJS14_S12_S11_EEENS8_IJLi3ELi4EEEElEEiEELb1EEEvPKT0_PKT1_T2_PT3_T4_T5_T6_T7_T8_T9_T10_T11_
	.globl	_ZN2ck35kernel_gemm_multiple_d_xdl_cshuffleINS_34GridwiseGemmMultipleD_xdl_cshuffleIDF16_DF16_DF16_ffNS_5TupleIJDF16_EEEDF16_NS_16tensor_operation12element_wise11PassThroughES6_12AlphaBetaAddLi1ELi256ELi256ELi128ELi32ELi8ELi8ELi16ELi16ELi8ELi4ENS_8SequenceIJLi4ELi64ELi1EEEENS8_IJLi1ELi0ELi2EEEESA_Li2ELi8ELi8ELb0ELi1ES9_SA_SA_Li2ELi8ELi8ELb0ELi1ELi1ELi1ENS8_IJLi1ELi32ELi1ELi8EEEELi4ELNS_13LoopSchedulerE0ELNS_15PipelineVersionE0EDF16_Lb0EEEDF16_DF16_NS2_IJPKDF16_EEEDF16_S6_S6_S7_NS_16TensorDescriptorINS2_IJNS_5EmbedINS2_IJiiEEENS2_IJiNS_17integral_constantIiLi1EEEEEELb0EEENS_8RightPadIiiLb0EEESQ_NS_7UnMergeINS2_IJiNSL_IiLi8EEEEEELb0EEENS_11PassThroughIiEEEEENS2_IJNS8_IJLi0EEEENS8_IJLi1EEEENS8_IJLi2EEEENS8_IJLi4EEEENS8_IJLi3EEEEEEENS2_IJNS8_IJLi1ELi2EEEES12_S11_NS8_IJLi5ELi6EEEENS8_IJLi7EEEEEEENS8_IJLi5ELi7ELi6EEEElEES19_NS2_IJNSI_INS2_IJSO_SQ_SQ_NSR_INS2_IJiNSL_IiLi256EEEEEELb0EEENSR_INS2_IJiNSL_IiLi128EEEEEELb0EEEEEENS2_IJSY_SZ_S10_S12_S11_EEENS2_IJS14_S12_S11_S15_NS8_IJLi7ELi8EEEEEEENS8_IJLi5ELi6ELi7ELi8EEEElEEEEES1L_NS_31BlockToCTileMap_M00_N0_M01AdaptILi256ELi128ENSI_INS2_IJSO_SQ_SQ_EEENS2_IJSY_SZ_S10_EEENS2_IJS14_S12_S11_EEENS8_IJLi3ELi4EEEElEEiEELb1EEEvPKT0_PKT1_T2_PT3_T4_T5_T6_T7_T8_T9_T10_T11_
	.p2align	8
	.type	_ZN2ck35kernel_gemm_multiple_d_xdl_cshuffleINS_34GridwiseGemmMultipleD_xdl_cshuffleIDF16_DF16_DF16_ffNS_5TupleIJDF16_EEEDF16_NS_16tensor_operation12element_wise11PassThroughES6_12AlphaBetaAddLi1ELi256ELi256ELi128ELi32ELi8ELi8ELi16ELi16ELi8ELi4ENS_8SequenceIJLi4ELi64ELi1EEEENS8_IJLi1ELi0ELi2EEEESA_Li2ELi8ELi8ELb0ELi1ES9_SA_SA_Li2ELi8ELi8ELb0ELi1ELi1ELi1ENS8_IJLi1ELi32ELi1ELi8EEEELi4ELNS_13LoopSchedulerE0ELNS_15PipelineVersionE0EDF16_Lb0EEEDF16_DF16_NS2_IJPKDF16_EEEDF16_S6_S6_S7_NS_16TensorDescriptorINS2_IJNS_5EmbedINS2_IJiiEEENS2_IJiNS_17integral_constantIiLi1EEEEEELb0EEENS_8RightPadIiiLb0EEESQ_NS_7UnMergeINS2_IJiNSL_IiLi8EEEEEELb0EEENS_11PassThroughIiEEEEENS2_IJNS8_IJLi0EEEENS8_IJLi1EEEENS8_IJLi2EEEENS8_IJLi4EEEENS8_IJLi3EEEEEEENS2_IJNS8_IJLi1ELi2EEEES12_S11_NS8_IJLi5ELi6EEEENS8_IJLi7EEEEEEENS8_IJLi5ELi7ELi6EEEElEES19_NS2_IJNSI_INS2_IJSO_SQ_SQ_NSR_INS2_IJiNSL_IiLi256EEEEEELb0EEENSR_INS2_IJiNSL_IiLi128EEEEEELb0EEEEEENS2_IJSY_SZ_S10_S12_S11_EEENS2_IJS14_S12_S11_S15_NS8_IJLi7ELi8EEEEEEENS8_IJLi5ELi6ELi7ELi8EEEElEEEEES1L_NS_31BlockToCTileMap_M00_N0_M01AdaptILi256ELi128ENSI_INS2_IJSO_SQ_SQ_EEENS2_IJSY_SZ_S10_EEENS2_IJS14_S12_S11_EEENS8_IJLi3ELi4EEEElEEiEELb1EEEvPKT0_PKT1_T2_PT3_T4_T5_T6_T7_T8_T9_T10_T11_,@function
_ZN2ck35kernel_gemm_multiple_d_xdl_cshuffleINS_34GridwiseGemmMultipleD_xdl_cshuffleIDF16_DF16_DF16_ffNS_5TupleIJDF16_EEEDF16_NS_16tensor_operation12element_wise11PassThroughES6_12AlphaBetaAddLi1ELi256ELi256ELi128ELi32ELi8ELi8ELi16ELi16ELi8ELi4ENS_8SequenceIJLi4ELi64ELi1EEEENS8_IJLi1ELi0ELi2EEEESA_Li2ELi8ELi8ELb0ELi1ES9_SA_SA_Li2ELi8ELi8ELb0ELi1ELi1ELi1ENS8_IJLi1ELi32ELi1ELi8EEEELi4ELNS_13LoopSchedulerE0ELNS_15PipelineVersionE0EDF16_Lb0EEEDF16_DF16_NS2_IJPKDF16_EEEDF16_S6_S6_S7_NS_16TensorDescriptorINS2_IJNS_5EmbedINS2_IJiiEEENS2_IJiNS_17integral_constantIiLi1EEEEEELb0EEENS_8RightPadIiiLb0EEESQ_NS_7UnMergeINS2_IJiNSL_IiLi8EEEEEELb0EEENS_11PassThroughIiEEEEENS2_IJNS8_IJLi0EEEENS8_IJLi1EEEENS8_IJLi2EEEENS8_IJLi4EEEENS8_IJLi3EEEEEEENS2_IJNS8_IJLi1ELi2EEEES12_S11_NS8_IJLi5ELi6EEEENS8_IJLi7EEEEEEENS8_IJLi5ELi7ELi6EEEElEES19_NS2_IJNSI_INS2_IJSO_SQ_SQ_NSR_INS2_IJiNSL_IiLi256EEEEEELb0EEENSR_INS2_IJiNSL_IiLi128EEEEEELb0EEEEEENS2_IJSY_SZ_S10_S12_S11_EEENS2_IJS14_S12_S11_S15_NS8_IJLi7ELi8EEEEEEENS8_IJLi5ELi6ELi7ELi8EEEElEEEEES1L_NS_31BlockToCTileMap_M00_N0_M01AdaptILi256ELi128ENSI_INS2_IJSO_SQ_SQ_EEENS2_IJSY_SZ_S10_EEENS2_IJS14_S12_S11_EEENS8_IJLi3ELi4EEEElEEiEELb1EEEvPKT0_PKT1_T2_PT3_T4_T5_T6_T7_T8_T9_T10_T11_: ; @_ZN2ck35kernel_gemm_multiple_d_xdl_cshuffleINS_34GridwiseGemmMultipleD_xdl_cshuffleIDF16_DF16_DF16_ffNS_5TupleIJDF16_EEEDF16_NS_16tensor_operation12element_wise11PassThroughES6_12AlphaBetaAddLi1ELi256ELi256ELi128ELi32ELi8ELi8ELi16ELi16ELi8ELi4ENS_8SequenceIJLi4ELi64ELi1EEEENS8_IJLi1ELi0ELi2EEEESA_Li2ELi8ELi8ELb0ELi1ES9_SA_SA_Li2ELi8ELi8ELb0ELi1ELi1ELi1ENS8_IJLi1ELi32ELi1ELi8EEEELi4ELNS_13LoopSchedulerE0ELNS_15PipelineVersionE0EDF16_Lb0EEEDF16_DF16_NS2_IJPKDF16_EEEDF16_S6_S6_S7_NS_16TensorDescriptorINS2_IJNS_5EmbedINS2_IJiiEEENS2_IJiNS_17integral_constantIiLi1EEEEEELb0EEENS_8RightPadIiiLb0EEESQ_NS_7UnMergeINS2_IJiNSL_IiLi8EEEEEELb0EEENS_11PassThroughIiEEEEENS2_IJNS8_IJLi0EEEENS8_IJLi1EEEENS8_IJLi2EEEENS8_IJLi4EEEENS8_IJLi3EEEEEEENS2_IJNS8_IJLi1ELi2EEEES12_S11_NS8_IJLi5ELi6EEEENS8_IJLi7EEEEEEENS8_IJLi5ELi7ELi6EEEElEES19_NS2_IJNSI_INS2_IJSO_SQ_SQ_NSR_INS2_IJiNSL_IiLi256EEEEEELb0EEENSR_INS2_IJiNSL_IiLi128EEEEEELb0EEEEEENS2_IJSY_SZ_S10_S12_S11_EEENS2_IJS14_S12_S11_S15_NS8_IJLi7ELi8EEEEEEENS8_IJLi5ELi6ELi7ELi8EEEElEEEEES1L_NS_31BlockToCTileMap_M00_N0_M01AdaptILi256ELi128ENSI_INS2_IJSO_SQ_SQ_EEENS2_IJSY_SZ_S10_EEENS2_IJS14_S12_S11_EEENS8_IJLi3ELi4EEEElEEiEELb1EEEvPKT0_PKT1_T2_PT3_T4_T5_T6_T7_T8_T9_T10_T11_
; %bb.0:
	s_endpgm
	.section	.rodata,"a",@progbits
	.p2align	6, 0x0
	.amdhsa_kernel _ZN2ck35kernel_gemm_multiple_d_xdl_cshuffleINS_34GridwiseGemmMultipleD_xdl_cshuffleIDF16_DF16_DF16_ffNS_5TupleIJDF16_EEEDF16_NS_16tensor_operation12element_wise11PassThroughES6_12AlphaBetaAddLi1ELi256ELi256ELi128ELi32ELi8ELi8ELi16ELi16ELi8ELi4ENS_8SequenceIJLi4ELi64ELi1EEEENS8_IJLi1ELi0ELi2EEEESA_Li2ELi8ELi8ELb0ELi1ES9_SA_SA_Li2ELi8ELi8ELb0ELi1ELi1ELi1ENS8_IJLi1ELi32ELi1ELi8EEEELi4ELNS_13LoopSchedulerE0ELNS_15PipelineVersionE0EDF16_Lb0EEEDF16_DF16_NS2_IJPKDF16_EEEDF16_S6_S6_S7_NS_16TensorDescriptorINS2_IJNS_5EmbedINS2_IJiiEEENS2_IJiNS_17integral_constantIiLi1EEEEEELb0EEENS_8RightPadIiiLb0EEESQ_NS_7UnMergeINS2_IJiNSL_IiLi8EEEEEELb0EEENS_11PassThroughIiEEEEENS2_IJNS8_IJLi0EEEENS8_IJLi1EEEENS8_IJLi2EEEENS8_IJLi4EEEENS8_IJLi3EEEEEEENS2_IJNS8_IJLi1ELi2EEEES12_S11_NS8_IJLi5ELi6EEEENS8_IJLi7EEEEEEENS8_IJLi5ELi7ELi6EEEElEES19_NS2_IJNSI_INS2_IJSO_SQ_SQ_NSR_INS2_IJiNSL_IiLi256EEEEEELb0EEENSR_INS2_IJiNSL_IiLi128EEEEEELb0EEEEEENS2_IJSY_SZ_S10_S12_S11_EEENS2_IJS14_S12_S11_S15_NS8_IJLi7ELi8EEEEEEENS8_IJLi5ELi6ELi7ELi8EEEElEEEEES1L_NS_31BlockToCTileMap_M00_N0_M01AdaptILi256ELi128ENSI_INS2_IJSO_SQ_SQ_EEENS2_IJSY_SZ_S10_EEENS2_IJS14_S12_S11_EEENS8_IJLi3ELi4EEEElEEiEELb1EEEvPKT0_PKT1_T2_PT3_T4_T5_T6_T7_T8_T9_T10_T11_
		.amdhsa_group_segment_fixed_size 0
		.amdhsa_private_segment_fixed_size 0
		.amdhsa_kernarg_size 364
		.amdhsa_user_sgpr_count 2
		.amdhsa_user_sgpr_dispatch_ptr 0
		.amdhsa_user_sgpr_queue_ptr 0
		.amdhsa_user_sgpr_kernarg_segment_ptr 1
		.amdhsa_user_sgpr_dispatch_id 0
		.amdhsa_user_sgpr_private_segment_size 0
		.amdhsa_wavefront_size32 1
		.amdhsa_uses_dynamic_stack 0
		.amdhsa_enable_private_segment 0
		.amdhsa_system_sgpr_workgroup_id_x 1
		.amdhsa_system_sgpr_workgroup_id_y 0
		.amdhsa_system_sgpr_workgroup_id_z 0
		.amdhsa_system_sgpr_workgroup_info 0
		.amdhsa_system_vgpr_workitem_id 0
		.amdhsa_next_free_vgpr 1
		.amdhsa_next_free_sgpr 1
		.amdhsa_reserve_vcc 0
		.amdhsa_float_round_mode_32 0
		.amdhsa_float_round_mode_16_64 0
		.amdhsa_float_denorm_mode_32 3
		.amdhsa_float_denorm_mode_16_64 3
		.amdhsa_fp16_overflow 0
		.amdhsa_workgroup_processor_mode 1
		.amdhsa_memory_ordered 1
		.amdhsa_forward_progress 1
		.amdhsa_inst_pref_size 1
		.amdhsa_round_robin_scheduling 0
		.amdhsa_exception_fp_ieee_invalid_op 0
		.amdhsa_exception_fp_denorm_src 0
		.amdhsa_exception_fp_ieee_div_zero 0
		.amdhsa_exception_fp_ieee_overflow 0
		.amdhsa_exception_fp_ieee_underflow 0
		.amdhsa_exception_fp_ieee_inexact 0
		.amdhsa_exception_int_div_zero 0
	.end_amdhsa_kernel
	.section	.text._ZN2ck35kernel_gemm_multiple_d_xdl_cshuffleINS_34GridwiseGemmMultipleD_xdl_cshuffleIDF16_DF16_DF16_ffNS_5TupleIJDF16_EEEDF16_NS_16tensor_operation12element_wise11PassThroughES6_12AlphaBetaAddLi1ELi256ELi256ELi128ELi32ELi8ELi8ELi16ELi16ELi8ELi4ENS_8SequenceIJLi4ELi64ELi1EEEENS8_IJLi1ELi0ELi2EEEESA_Li2ELi8ELi8ELb0ELi1ES9_SA_SA_Li2ELi8ELi8ELb0ELi1ELi1ELi1ENS8_IJLi1ELi32ELi1ELi8EEEELi4ELNS_13LoopSchedulerE0ELNS_15PipelineVersionE0EDF16_Lb0EEEDF16_DF16_NS2_IJPKDF16_EEEDF16_S6_S6_S7_NS_16TensorDescriptorINS2_IJNS_5EmbedINS2_IJiiEEENS2_IJiNS_17integral_constantIiLi1EEEEEELb0EEENS_8RightPadIiiLb0EEESQ_NS_7UnMergeINS2_IJiNSL_IiLi8EEEEEELb0EEENS_11PassThroughIiEEEEENS2_IJNS8_IJLi0EEEENS8_IJLi1EEEENS8_IJLi2EEEENS8_IJLi4EEEENS8_IJLi3EEEEEEENS2_IJNS8_IJLi1ELi2EEEES12_S11_NS8_IJLi5ELi6EEEENS8_IJLi7EEEEEEENS8_IJLi5ELi7ELi6EEEElEES19_NS2_IJNSI_INS2_IJSO_SQ_SQ_NSR_INS2_IJiNSL_IiLi256EEEEEELb0EEENSR_INS2_IJiNSL_IiLi128EEEEEELb0EEEEEENS2_IJSY_SZ_S10_S12_S11_EEENS2_IJS14_S12_S11_S15_NS8_IJLi7ELi8EEEEEEENS8_IJLi5ELi6ELi7ELi8EEEElEEEEES1L_NS_31BlockToCTileMap_M00_N0_M01AdaptILi256ELi128ENSI_INS2_IJSO_SQ_SQ_EEENS2_IJSY_SZ_S10_EEENS2_IJS14_S12_S11_EEENS8_IJLi3ELi4EEEElEEiEELb1EEEvPKT0_PKT1_T2_PT3_T4_T5_T6_T7_T8_T9_T10_T11_,"axG",@progbits,_ZN2ck35kernel_gemm_multiple_d_xdl_cshuffleINS_34GridwiseGemmMultipleD_xdl_cshuffleIDF16_DF16_DF16_ffNS_5TupleIJDF16_EEEDF16_NS_16tensor_operation12element_wise11PassThroughES6_12AlphaBetaAddLi1ELi256ELi256ELi128ELi32ELi8ELi8ELi16ELi16ELi8ELi4ENS_8SequenceIJLi4ELi64ELi1EEEENS8_IJLi1ELi0ELi2EEEESA_Li2ELi8ELi8ELb0ELi1ES9_SA_SA_Li2ELi8ELi8ELb0ELi1ELi1ELi1ENS8_IJLi1ELi32ELi1ELi8EEEELi4ELNS_13LoopSchedulerE0ELNS_15PipelineVersionE0EDF16_Lb0EEEDF16_DF16_NS2_IJPKDF16_EEEDF16_S6_S6_S7_NS_16TensorDescriptorINS2_IJNS_5EmbedINS2_IJiiEEENS2_IJiNS_17integral_constantIiLi1EEEEEELb0EEENS_8RightPadIiiLb0EEESQ_NS_7UnMergeINS2_IJiNSL_IiLi8EEEEEELb0EEENS_11PassThroughIiEEEEENS2_IJNS8_IJLi0EEEENS8_IJLi1EEEENS8_IJLi2EEEENS8_IJLi4EEEENS8_IJLi3EEEEEEENS2_IJNS8_IJLi1ELi2EEEES12_S11_NS8_IJLi5ELi6EEEENS8_IJLi7EEEEEEENS8_IJLi5ELi7ELi6EEEElEES19_NS2_IJNSI_INS2_IJSO_SQ_SQ_NSR_INS2_IJiNSL_IiLi256EEEEEELb0EEENSR_INS2_IJiNSL_IiLi128EEEEEELb0EEEEEENS2_IJSY_SZ_S10_S12_S11_EEENS2_IJS14_S12_S11_S15_NS8_IJLi7ELi8EEEEEEENS8_IJLi5ELi6ELi7ELi8EEEElEEEEES1L_NS_31BlockToCTileMap_M00_N0_M01AdaptILi256ELi128ENSI_INS2_IJSO_SQ_SQ_EEENS2_IJSY_SZ_S10_EEENS2_IJS14_S12_S11_EEENS8_IJLi3ELi4EEEElEEiEELb1EEEvPKT0_PKT1_T2_PT3_T4_T5_T6_T7_T8_T9_T10_T11_,comdat
.Lfunc_end1:
	.size	_ZN2ck35kernel_gemm_multiple_d_xdl_cshuffleINS_34GridwiseGemmMultipleD_xdl_cshuffleIDF16_DF16_DF16_ffNS_5TupleIJDF16_EEEDF16_NS_16tensor_operation12element_wise11PassThroughES6_12AlphaBetaAddLi1ELi256ELi256ELi128ELi32ELi8ELi8ELi16ELi16ELi8ELi4ENS_8SequenceIJLi4ELi64ELi1EEEENS8_IJLi1ELi0ELi2EEEESA_Li2ELi8ELi8ELb0ELi1ES9_SA_SA_Li2ELi8ELi8ELb0ELi1ELi1ELi1ENS8_IJLi1ELi32ELi1ELi8EEEELi4ELNS_13LoopSchedulerE0ELNS_15PipelineVersionE0EDF16_Lb0EEEDF16_DF16_NS2_IJPKDF16_EEEDF16_S6_S6_S7_NS_16TensorDescriptorINS2_IJNS_5EmbedINS2_IJiiEEENS2_IJiNS_17integral_constantIiLi1EEEEEELb0EEENS_8RightPadIiiLb0EEESQ_NS_7UnMergeINS2_IJiNSL_IiLi8EEEEEELb0EEENS_11PassThroughIiEEEEENS2_IJNS8_IJLi0EEEENS8_IJLi1EEEENS8_IJLi2EEEENS8_IJLi4EEEENS8_IJLi3EEEEEEENS2_IJNS8_IJLi1ELi2EEEES12_S11_NS8_IJLi5ELi6EEEENS8_IJLi7EEEEEEENS8_IJLi5ELi7ELi6EEEElEES19_NS2_IJNSI_INS2_IJSO_SQ_SQ_NSR_INS2_IJiNSL_IiLi256EEEEEELb0EEENSR_INS2_IJiNSL_IiLi128EEEEEELb0EEEEEENS2_IJSY_SZ_S10_S12_S11_EEENS2_IJS14_S12_S11_S15_NS8_IJLi7ELi8EEEEEEENS8_IJLi5ELi6ELi7ELi8EEEElEEEEES1L_NS_31BlockToCTileMap_M00_N0_M01AdaptILi256ELi128ENSI_INS2_IJSO_SQ_SQ_EEENS2_IJSY_SZ_S10_EEENS2_IJS14_S12_S11_EEENS8_IJLi3ELi4EEEElEEiEELb1EEEvPKT0_PKT1_T2_PT3_T4_T5_T6_T7_T8_T9_T10_T11_, .Lfunc_end1-_ZN2ck35kernel_gemm_multiple_d_xdl_cshuffleINS_34GridwiseGemmMultipleD_xdl_cshuffleIDF16_DF16_DF16_ffNS_5TupleIJDF16_EEEDF16_NS_16tensor_operation12element_wise11PassThroughES6_12AlphaBetaAddLi1ELi256ELi256ELi128ELi32ELi8ELi8ELi16ELi16ELi8ELi4ENS_8SequenceIJLi4ELi64ELi1EEEENS8_IJLi1ELi0ELi2EEEESA_Li2ELi8ELi8ELb0ELi1ES9_SA_SA_Li2ELi8ELi8ELb0ELi1ELi1ELi1ENS8_IJLi1ELi32ELi1ELi8EEEELi4ELNS_13LoopSchedulerE0ELNS_15PipelineVersionE0EDF16_Lb0EEEDF16_DF16_NS2_IJPKDF16_EEEDF16_S6_S6_S7_NS_16TensorDescriptorINS2_IJNS_5EmbedINS2_IJiiEEENS2_IJiNS_17integral_constantIiLi1EEEEEELb0EEENS_8RightPadIiiLb0EEESQ_NS_7UnMergeINS2_IJiNSL_IiLi8EEEEEELb0EEENS_11PassThroughIiEEEEENS2_IJNS8_IJLi0EEEENS8_IJLi1EEEENS8_IJLi2EEEENS8_IJLi4EEEENS8_IJLi3EEEEEEENS2_IJNS8_IJLi1ELi2EEEES12_S11_NS8_IJLi5ELi6EEEENS8_IJLi7EEEEEEENS8_IJLi5ELi7ELi6EEEElEES19_NS2_IJNSI_INS2_IJSO_SQ_SQ_NSR_INS2_IJiNSL_IiLi256EEEEEELb0EEENSR_INS2_IJiNSL_IiLi128EEEEEELb0EEEEEENS2_IJSY_SZ_S10_S12_S11_EEENS2_IJS14_S12_S11_S15_NS8_IJLi7ELi8EEEEEEENS8_IJLi5ELi6ELi7ELi8EEEElEEEEES1L_NS_31BlockToCTileMap_M00_N0_M01AdaptILi256ELi128ENSI_INS2_IJSO_SQ_SQ_EEENS2_IJSY_SZ_S10_EEENS2_IJS14_S12_S11_EEENS8_IJLi3ELi4EEEElEEiEELb1EEEvPKT0_PKT1_T2_PT3_T4_T5_T6_T7_T8_T9_T10_T11_
                                        ; -- End function
	.set _ZN2ck35kernel_gemm_multiple_d_xdl_cshuffleINS_34GridwiseGemmMultipleD_xdl_cshuffleIDF16_DF16_DF16_ffNS_5TupleIJDF16_EEEDF16_NS_16tensor_operation12element_wise11PassThroughES6_12AlphaBetaAddLi1ELi256ELi256ELi128ELi32ELi8ELi8ELi16ELi16ELi8ELi4ENS_8SequenceIJLi4ELi64ELi1EEEENS8_IJLi1ELi0ELi2EEEESA_Li2ELi8ELi8ELb0ELi1ES9_SA_SA_Li2ELi8ELi8ELb0ELi1ELi1ELi1ENS8_IJLi1ELi32ELi1ELi8EEEELi4ELNS_13LoopSchedulerE0ELNS_15PipelineVersionE0EDF16_Lb0EEEDF16_DF16_NS2_IJPKDF16_EEEDF16_S6_S6_S7_NS_16TensorDescriptorINS2_IJNS_5EmbedINS2_IJiiEEENS2_IJiNS_17integral_constantIiLi1EEEEEELb0EEENS_8RightPadIiiLb0EEESQ_NS_7UnMergeINS2_IJiNSL_IiLi8EEEEEELb0EEENS_11PassThroughIiEEEEENS2_IJNS8_IJLi0EEEENS8_IJLi1EEEENS8_IJLi2EEEENS8_IJLi4EEEENS8_IJLi3EEEEEEENS2_IJNS8_IJLi1ELi2EEEES12_S11_NS8_IJLi5ELi6EEEENS8_IJLi7EEEEEEENS8_IJLi5ELi7ELi6EEEElEES19_NS2_IJNSI_INS2_IJSO_SQ_SQ_NSR_INS2_IJiNSL_IiLi256EEEEEELb0EEENSR_INS2_IJiNSL_IiLi128EEEEEELb0EEEEEENS2_IJSY_SZ_S10_S12_S11_EEENS2_IJS14_S12_S11_S15_NS8_IJLi7ELi8EEEEEEENS8_IJLi5ELi6ELi7ELi8EEEElEEEEES1L_NS_31BlockToCTileMap_M00_N0_M01AdaptILi256ELi128ENSI_INS2_IJSO_SQ_SQ_EEENS2_IJSY_SZ_S10_EEENS2_IJS14_S12_S11_EEENS8_IJLi3ELi4EEEElEEiEELb1EEEvPKT0_PKT1_T2_PT3_T4_T5_T6_T7_T8_T9_T10_T11_.num_vgpr, 0
	.set _ZN2ck35kernel_gemm_multiple_d_xdl_cshuffleINS_34GridwiseGemmMultipleD_xdl_cshuffleIDF16_DF16_DF16_ffNS_5TupleIJDF16_EEEDF16_NS_16tensor_operation12element_wise11PassThroughES6_12AlphaBetaAddLi1ELi256ELi256ELi128ELi32ELi8ELi8ELi16ELi16ELi8ELi4ENS_8SequenceIJLi4ELi64ELi1EEEENS8_IJLi1ELi0ELi2EEEESA_Li2ELi8ELi8ELb0ELi1ES9_SA_SA_Li2ELi8ELi8ELb0ELi1ELi1ELi1ENS8_IJLi1ELi32ELi1ELi8EEEELi4ELNS_13LoopSchedulerE0ELNS_15PipelineVersionE0EDF16_Lb0EEEDF16_DF16_NS2_IJPKDF16_EEEDF16_S6_S6_S7_NS_16TensorDescriptorINS2_IJNS_5EmbedINS2_IJiiEEENS2_IJiNS_17integral_constantIiLi1EEEEEELb0EEENS_8RightPadIiiLb0EEESQ_NS_7UnMergeINS2_IJiNSL_IiLi8EEEEEELb0EEENS_11PassThroughIiEEEEENS2_IJNS8_IJLi0EEEENS8_IJLi1EEEENS8_IJLi2EEEENS8_IJLi4EEEENS8_IJLi3EEEEEEENS2_IJNS8_IJLi1ELi2EEEES12_S11_NS8_IJLi5ELi6EEEENS8_IJLi7EEEEEEENS8_IJLi5ELi7ELi6EEEElEES19_NS2_IJNSI_INS2_IJSO_SQ_SQ_NSR_INS2_IJiNSL_IiLi256EEEEEELb0EEENSR_INS2_IJiNSL_IiLi128EEEEEELb0EEEEEENS2_IJSY_SZ_S10_S12_S11_EEENS2_IJS14_S12_S11_S15_NS8_IJLi7ELi8EEEEEEENS8_IJLi5ELi6ELi7ELi8EEEElEEEEES1L_NS_31BlockToCTileMap_M00_N0_M01AdaptILi256ELi128ENSI_INS2_IJSO_SQ_SQ_EEENS2_IJSY_SZ_S10_EEENS2_IJS14_S12_S11_EEENS8_IJLi3ELi4EEEElEEiEELb1EEEvPKT0_PKT1_T2_PT3_T4_T5_T6_T7_T8_T9_T10_T11_.num_agpr, 0
	.set _ZN2ck35kernel_gemm_multiple_d_xdl_cshuffleINS_34GridwiseGemmMultipleD_xdl_cshuffleIDF16_DF16_DF16_ffNS_5TupleIJDF16_EEEDF16_NS_16tensor_operation12element_wise11PassThroughES6_12AlphaBetaAddLi1ELi256ELi256ELi128ELi32ELi8ELi8ELi16ELi16ELi8ELi4ENS_8SequenceIJLi4ELi64ELi1EEEENS8_IJLi1ELi0ELi2EEEESA_Li2ELi8ELi8ELb0ELi1ES9_SA_SA_Li2ELi8ELi8ELb0ELi1ELi1ELi1ENS8_IJLi1ELi32ELi1ELi8EEEELi4ELNS_13LoopSchedulerE0ELNS_15PipelineVersionE0EDF16_Lb0EEEDF16_DF16_NS2_IJPKDF16_EEEDF16_S6_S6_S7_NS_16TensorDescriptorINS2_IJNS_5EmbedINS2_IJiiEEENS2_IJiNS_17integral_constantIiLi1EEEEEELb0EEENS_8RightPadIiiLb0EEESQ_NS_7UnMergeINS2_IJiNSL_IiLi8EEEEEELb0EEENS_11PassThroughIiEEEEENS2_IJNS8_IJLi0EEEENS8_IJLi1EEEENS8_IJLi2EEEENS8_IJLi4EEEENS8_IJLi3EEEEEEENS2_IJNS8_IJLi1ELi2EEEES12_S11_NS8_IJLi5ELi6EEEENS8_IJLi7EEEEEEENS8_IJLi5ELi7ELi6EEEElEES19_NS2_IJNSI_INS2_IJSO_SQ_SQ_NSR_INS2_IJiNSL_IiLi256EEEEEELb0EEENSR_INS2_IJiNSL_IiLi128EEEEEELb0EEEEEENS2_IJSY_SZ_S10_S12_S11_EEENS2_IJS14_S12_S11_S15_NS8_IJLi7ELi8EEEEEEENS8_IJLi5ELi6ELi7ELi8EEEElEEEEES1L_NS_31BlockToCTileMap_M00_N0_M01AdaptILi256ELi128ENSI_INS2_IJSO_SQ_SQ_EEENS2_IJSY_SZ_S10_EEENS2_IJS14_S12_S11_EEENS8_IJLi3ELi4EEEElEEiEELb1EEEvPKT0_PKT1_T2_PT3_T4_T5_T6_T7_T8_T9_T10_T11_.numbered_sgpr, 0
	.set _ZN2ck35kernel_gemm_multiple_d_xdl_cshuffleINS_34GridwiseGemmMultipleD_xdl_cshuffleIDF16_DF16_DF16_ffNS_5TupleIJDF16_EEEDF16_NS_16tensor_operation12element_wise11PassThroughES6_12AlphaBetaAddLi1ELi256ELi256ELi128ELi32ELi8ELi8ELi16ELi16ELi8ELi4ENS_8SequenceIJLi4ELi64ELi1EEEENS8_IJLi1ELi0ELi2EEEESA_Li2ELi8ELi8ELb0ELi1ES9_SA_SA_Li2ELi8ELi8ELb0ELi1ELi1ELi1ENS8_IJLi1ELi32ELi1ELi8EEEELi4ELNS_13LoopSchedulerE0ELNS_15PipelineVersionE0EDF16_Lb0EEEDF16_DF16_NS2_IJPKDF16_EEEDF16_S6_S6_S7_NS_16TensorDescriptorINS2_IJNS_5EmbedINS2_IJiiEEENS2_IJiNS_17integral_constantIiLi1EEEEEELb0EEENS_8RightPadIiiLb0EEESQ_NS_7UnMergeINS2_IJiNSL_IiLi8EEEEEELb0EEENS_11PassThroughIiEEEEENS2_IJNS8_IJLi0EEEENS8_IJLi1EEEENS8_IJLi2EEEENS8_IJLi4EEEENS8_IJLi3EEEEEEENS2_IJNS8_IJLi1ELi2EEEES12_S11_NS8_IJLi5ELi6EEEENS8_IJLi7EEEEEEENS8_IJLi5ELi7ELi6EEEElEES19_NS2_IJNSI_INS2_IJSO_SQ_SQ_NSR_INS2_IJiNSL_IiLi256EEEEEELb0EEENSR_INS2_IJiNSL_IiLi128EEEEEELb0EEEEEENS2_IJSY_SZ_S10_S12_S11_EEENS2_IJS14_S12_S11_S15_NS8_IJLi7ELi8EEEEEEENS8_IJLi5ELi6ELi7ELi8EEEElEEEEES1L_NS_31BlockToCTileMap_M00_N0_M01AdaptILi256ELi128ENSI_INS2_IJSO_SQ_SQ_EEENS2_IJSY_SZ_S10_EEENS2_IJS14_S12_S11_EEENS8_IJLi3ELi4EEEElEEiEELb1EEEvPKT0_PKT1_T2_PT3_T4_T5_T6_T7_T8_T9_T10_T11_.num_named_barrier, 0
	.set _ZN2ck35kernel_gemm_multiple_d_xdl_cshuffleINS_34GridwiseGemmMultipleD_xdl_cshuffleIDF16_DF16_DF16_ffNS_5TupleIJDF16_EEEDF16_NS_16tensor_operation12element_wise11PassThroughES6_12AlphaBetaAddLi1ELi256ELi256ELi128ELi32ELi8ELi8ELi16ELi16ELi8ELi4ENS_8SequenceIJLi4ELi64ELi1EEEENS8_IJLi1ELi0ELi2EEEESA_Li2ELi8ELi8ELb0ELi1ES9_SA_SA_Li2ELi8ELi8ELb0ELi1ELi1ELi1ENS8_IJLi1ELi32ELi1ELi8EEEELi4ELNS_13LoopSchedulerE0ELNS_15PipelineVersionE0EDF16_Lb0EEEDF16_DF16_NS2_IJPKDF16_EEEDF16_S6_S6_S7_NS_16TensorDescriptorINS2_IJNS_5EmbedINS2_IJiiEEENS2_IJiNS_17integral_constantIiLi1EEEEEELb0EEENS_8RightPadIiiLb0EEESQ_NS_7UnMergeINS2_IJiNSL_IiLi8EEEEEELb0EEENS_11PassThroughIiEEEEENS2_IJNS8_IJLi0EEEENS8_IJLi1EEEENS8_IJLi2EEEENS8_IJLi4EEEENS8_IJLi3EEEEEEENS2_IJNS8_IJLi1ELi2EEEES12_S11_NS8_IJLi5ELi6EEEENS8_IJLi7EEEEEEENS8_IJLi5ELi7ELi6EEEElEES19_NS2_IJNSI_INS2_IJSO_SQ_SQ_NSR_INS2_IJiNSL_IiLi256EEEEEELb0EEENSR_INS2_IJiNSL_IiLi128EEEEEELb0EEEEEENS2_IJSY_SZ_S10_S12_S11_EEENS2_IJS14_S12_S11_S15_NS8_IJLi7ELi8EEEEEEENS8_IJLi5ELi6ELi7ELi8EEEElEEEEES1L_NS_31BlockToCTileMap_M00_N0_M01AdaptILi256ELi128ENSI_INS2_IJSO_SQ_SQ_EEENS2_IJSY_SZ_S10_EEENS2_IJS14_S12_S11_EEENS8_IJLi3ELi4EEEElEEiEELb1EEEvPKT0_PKT1_T2_PT3_T4_T5_T6_T7_T8_T9_T10_T11_.private_seg_size, 0
	.set _ZN2ck35kernel_gemm_multiple_d_xdl_cshuffleINS_34GridwiseGemmMultipleD_xdl_cshuffleIDF16_DF16_DF16_ffNS_5TupleIJDF16_EEEDF16_NS_16tensor_operation12element_wise11PassThroughES6_12AlphaBetaAddLi1ELi256ELi256ELi128ELi32ELi8ELi8ELi16ELi16ELi8ELi4ENS_8SequenceIJLi4ELi64ELi1EEEENS8_IJLi1ELi0ELi2EEEESA_Li2ELi8ELi8ELb0ELi1ES9_SA_SA_Li2ELi8ELi8ELb0ELi1ELi1ELi1ENS8_IJLi1ELi32ELi1ELi8EEEELi4ELNS_13LoopSchedulerE0ELNS_15PipelineVersionE0EDF16_Lb0EEEDF16_DF16_NS2_IJPKDF16_EEEDF16_S6_S6_S7_NS_16TensorDescriptorINS2_IJNS_5EmbedINS2_IJiiEEENS2_IJiNS_17integral_constantIiLi1EEEEEELb0EEENS_8RightPadIiiLb0EEESQ_NS_7UnMergeINS2_IJiNSL_IiLi8EEEEEELb0EEENS_11PassThroughIiEEEEENS2_IJNS8_IJLi0EEEENS8_IJLi1EEEENS8_IJLi2EEEENS8_IJLi4EEEENS8_IJLi3EEEEEEENS2_IJNS8_IJLi1ELi2EEEES12_S11_NS8_IJLi5ELi6EEEENS8_IJLi7EEEEEEENS8_IJLi5ELi7ELi6EEEElEES19_NS2_IJNSI_INS2_IJSO_SQ_SQ_NSR_INS2_IJiNSL_IiLi256EEEEEELb0EEENSR_INS2_IJiNSL_IiLi128EEEEEELb0EEEEEENS2_IJSY_SZ_S10_S12_S11_EEENS2_IJS14_S12_S11_S15_NS8_IJLi7ELi8EEEEEEENS8_IJLi5ELi6ELi7ELi8EEEElEEEEES1L_NS_31BlockToCTileMap_M00_N0_M01AdaptILi256ELi128ENSI_INS2_IJSO_SQ_SQ_EEENS2_IJSY_SZ_S10_EEENS2_IJS14_S12_S11_EEENS8_IJLi3ELi4EEEElEEiEELb1EEEvPKT0_PKT1_T2_PT3_T4_T5_T6_T7_T8_T9_T10_T11_.uses_vcc, 0
	.set _ZN2ck35kernel_gemm_multiple_d_xdl_cshuffleINS_34GridwiseGemmMultipleD_xdl_cshuffleIDF16_DF16_DF16_ffNS_5TupleIJDF16_EEEDF16_NS_16tensor_operation12element_wise11PassThroughES6_12AlphaBetaAddLi1ELi256ELi256ELi128ELi32ELi8ELi8ELi16ELi16ELi8ELi4ENS_8SequenceIJLi4ELi64ELi1EEEENS8_IJLi1ELi0ELi2EEEESA_Li2ELi8ELi8ELb0ELi1ES9_SA_SA_Li2ELi8ELi8ELb0ELi1ELi1ELi1ENS8_IJLi1ELi32ELi1ELi8EEEELi4ELNS_13LoopSchedulerE0ELNS_15PipelineVersionE0EDF16_Lb0EEEDF16_DF16_NS2_IJPKDF16_EEEDF16_S6_S6_S7_NS_16TensorDescriptorINS2_IJNS_5EmbedINS2_IJiiEEENS2_IJiNS_17integral_constantIiLi1EEEEEELb0EEENS_8RightPadIiiLb0EEESQ_NS_7UnMergeINS2_IJiNSL_IiLi8EEEEEELb0EEENS_11PassThroughIiEEEEENS2_IJNS8_IJLi0EEEENS8_IJLi1EEEENS8_IJLi2EEEENS8_IJLi4EEEENS8_IJLi3EEEEEEENS2_IJNS8_IJLi1ELi2EEEES12_S11_NS8_IJLi5ELi6EEEENS8_IJLi7EEEEEEENS8_IJLi5ELi7ELi6EEEElEES19_NS2_IJNSI_INS2_IJSO_SQ_SQ_NSR_INS2_IJiNSL_IiLi256EEEEEELb0EEENSR_INS2_IJiNSL_IiLi128EEEEEELb0EEEEEENS2_IJSY_SZ_S10_S12_S11_EEENS2_IJS14_S12_S11_S15_NS8_IJLi7ELi8EEEEEEENS8_IJLi5ELi6ELi7ELi8EEEElEEEEES1L_NS_31BlockToCTileMap_M00_N0_M01AdaptILi256ELi128ENSI_INS2_IJSO_SQ_SQ_EEENS2_IJSY_SZ_S10_EEENS2_IJS14_S12_S11_EEENS8_IJLi3ELi4EEEElEEiEELb1EEEvPKT0_PKT1_T2_PT3_T4_T5_T6_T7_T8_T9_T10_T11_.uses_flat_scratch, 0
	.set _ZN2ck35kernel_gemm_multiple_d_xdl_cshuffleINS_34GridwiseGemmMultipleD_xdl_cshuffleIDF16_DF16_DF16_ffNS_5TupleIJDF16_EEEDF16_NS_16tensor_operation12element_wise11PassThroughES6_12AlphaBetaAddLi1ELi256ELi256ELi128ELi32ELi8ELi8ELi16ELi16ELi8ELi4ENS_8SequenceIJLi4ELi64ELi1EEEENS8_IJLi1ELi0ELi2EEEESA_Li2ELi8ELi8ELb0ELi1ES9_SA_SA_Li2ELi8ELi8ELb0ELi1ELi1ELi1ENS8_IJLi1ELi32ELi1ELi8EEEELi4ELNS_13LoopSchedulerE0ELNS_15PipelineVersionE0EDF16_Lb0EEEDF16_DF16_NS2_IJPKDF16_EEEDF16_S6_S6_S7_NS_16TensorDescriptorINS2_IJNS_5EmbedINS2_IJiiEEENS2_IJiNS_17integral_constantIiLi1EEEEEELb0EEENS_8RightPadIiiLb0EEESQ_NS_7UnMergeINS2_IJiNSL_IiLi8EEEEEELb0EEENS_11PassThroughIiEEEEENS2_IJNS8_IJLi0EEEENS8_IJLi1EEEENS8_IJLi2EEEENS8_IJLi4EEEENS8_IJLi3EEEEEEENS2_IJNS8_IJLi1ELi2EEEES12_S11_NS8_IJLi5ELi6EEEENS8_IJLi7EEEEEEENS8_IJLi5ELi7ELi6EEEElEES19_NS2_IJNSI_INS2_IJSO_SQ_SQ_NSR_INS2_IJiNSL_IiLi256EEEEEELb0EEENSR_INS2_IJiNSL_IiLi128EEEEEELb0EEEEEENS2_IJSY_SZ_S10_S12_S11_EEENS2_IJS14_S12_S11_S15_NS8_IJLi7ELi8EEEEEEENS8_IJLi5ELi6ELi7ELi8EEEElEEEEES1L_NS_31BlockToCTileMap_M00_N0_M01AdaptILi256ELi128ENSI_INS2_IJSO_SQ_SQ_EEENS2_IJSY_SZ_S10_EEENS2_IJS14_S12_S11_EEENS8_IJLi3ELi4EEEElEEiEELb1EEEvPKT0_PKT1_T2_PT3_T4_T5_T6_T7_T8_T9_T10_T11_.has_dyn_sized_stack, 0
	.set _ZN2ck35kernel_gemm_multiple_d_xdl_cshuffleINS_34GridwiseGemmMultipleD_xdl_cshuffleIDF16_DF16_DF16_ffNS_5TupleIJDF16_EEEDF16_NS_16tensor_operation12element_wise11PassThroughES6_12AlphaBetaAddLi1ELi256ELi256ELi128ELi32ELi8ELi8ELi16ELi16ELi8ELi4ENS_8SequenceIJLi4ELi64ELi1EEEENS8_IJLi1ELi0ELi2EEEESA_Li2ELi8ELi8ELb0ELi1ES9_SA_SA_Li2ELi8ELi8ELb0ELi1ELi1ELi1ENS8_IJLi1ELi32ELi1ELi8EEEELi4ELNS_13LoopSchedulerE0ELNS_15PipelineVersionE0EDF16_Lb0EEEDF16_DF16_NS2_IJPKDF16_EEEDF16_S6_S6_S7_NS_16TensorDescriptorINS2_IJNS_5EmbedINS2_IJiiEEENS2_IJiNS_17integral_constantIiLi1EEEEEELb0EEENS_8RightPadIiiLb0EEESQ_NS_7UnMergeINS2_IJiNSL_IiLi8EEEEEELb0EEENS_11PassThroughIiEEEEENS2_IJNS8_IJLi0EEEENS8_IJLi1EEEENS8_IJLi2EEEENS8_IJLi4EEEENS8_IJLi3EEEEEEENS2_IJNS8_IJLi1ELi2EEEES12_S11_NS8_IJLi5ELi6EEEENS8_IJLi7EEEEEEENS8_IJLi5ELi7ELi6EEEElEES19_NS2_IJNSI_INS2_IJSO_SQ_SQ_NSR_INS2_IJiNSL_IiLi256EEEEEELb0EEENSR_INS2_IJiNSL_IiLi128EEEEEELb0EEEEEENS2_IJSY_SZ_S10_S12_S11_EEENS2_IJS14_S12_S11_S15_NS8_IJLi7ELi8EEEEEEENS8_IJLi5ELi6ELi7ELi8EEEElEEEEES1L_NS_31BlockToCTileMap_M00_N0_M01AdaptILi256ELi128ENSI_INS2_IJSO_SQ_SQ_EEENS2_IJSY_SZ_S10_EEENS2_IJS14_S12_S11_EEENS8_IJLi3ELi4EEEElEEiEELb1EEEvPKT0_PKT1_T2_PT3_T4_T5_T6_T7_T8_T9_T10_T11_.has_recursion, 0
	.set _ZN2ck35kernel_gemm_multiple_d_xdl_cshuffleINS_34GridwiseGemmMultipleD_xdl_cshuffleIDF16_DF16_DF16_ffNS_5TupleIJDF16_EEEDF16_NS_16tensor_operation12element_wise11PassThroughES6_12AlphaBetaAddLi1ELi256ELi256ELi128ELi32ELi8ELi8ELi16ELi16ELi8ELi4ENS_8SequenceIJLi4ELi64ELi1EEEENS8_IJLi1ELi0ELi2EEEESA_Li2ELi8ELi8ELb0ELi1ES9_SA_SA_Li2ELi8ELi8ELb0ELi1ELi1ELi1ENS8_IJLi1ELi32ELi1ELi8EEEELi4ELNS_13LoopSchedulerE0ELNS_15PipelineVersionE0EDF16_Lb0EEEDF16_DF16_NS2_IJPKDF16_EEEDF16_S6_S6_S7_NS_16TensorDescriptorINS2_IJNS_5EmbedINS2_IJiiEEENS2_IJiNS_17integral_constantIiLi1EEEEEELb0EEENS_8RightPadIiiLb0EEESQ_NS_7UnMergeINS2_IJiNSL_IiLi8EEEEEELb0EEENS_11PassThroughIiEEEEENS2_IJNS8_IJLi0EEEENS8_IJLi1EEEENS8_IJLi2EEEENS8_IJLi4EEEENS8_IJLi3EEEEEEENS2_IJNS8_IJLi1ELi2EEEES12_S11_NS8_IJLi5ELi6EEEENS8_IJLi7EEEEEEENS8_IJLi5ELi7ELi6EEEElEES19_NS2_IJNSI_INS2_IJSO_SQ_SQ_NSR_INS2_IJiNSL_IiLi256EEEEEELb0EEENSR_INS2_IJiNSL_IiLi128EEEEEELb0EEEEEENS2_IJSY_SZ_S10_S12_S11_EEENS2_IJS14_S12_S11_S15_NS8_IJLi7ELi8EEEEEEENS8_IJLi5ELi6ELi7ELi8EEEElEEEEES1L_NS_31BlockToCTileMap_M00_N0_M01AdaptILi256ELi128ENSI_INS2_IJSO_SQ_SQ_EEENS2_IJSY_SZ_S10_EEENS2_IJS14_S12_S11_EEENS8_IJLi3ELi4EEEElEEiEELb1EEEvPKT0_PKT1_T2_PT3_T4_T5_T6_T7_T8_T9_T10_T11_.has_indirect_call, 0
	.section	.AMDGPU.csdata,"",@progbits
; Kernel info:
; codeLenInByte = 4
; TotalNumSgprs: 0
; NumVgprs: 0
; ScratchSize: 0
; MemoryBound: 0
; FloatMode: 240
; IeeeMode: 1
; LDSByteSize: 0 bytes/workgroup (compile time only)
; SGPRBlocks: 0
; VGPRBlocks: 0
; NumSGPRsForWavesPerEU: 1
; NumVGPRsForWavesPerEU: 1
; Occupancy: 16
; WaveLimiterHint : 0
; COMPUTE_PGM_RSRC2:SCRATCH_EN: 0
; COMPUTE_PGM_RSRC2:USER_SGPR: 2
; COMPUTE_PGM_RSRC2:TRAP_HANDLER: 0
; COMPUTE_PGM_RSRC2:TGID_X_EN: 1
; COMPUTE_PGM_RSRC2:TGID_Y_EN: 0
; COMPUTE_PGM_RSRC2:TGID_Z_EN: 0
; COMPUTE_PGM_RSRC2:TIDIG_COMP_CNT: 0
	.section	.text._ZN2ck35kernel_gemm_multiple_d_xdl_cshuffleINS_34GridwiseGemmMultipleD_xdl_cshuffleIDF16_DF16_DF16_ffNS_5TupleIJDF16_EEEDF16_NS_16tensor_operation12element_wise11PassThroughES6_12AlphaBetaAddLi1ELi256ELi256ELi128ELi32ELi8ELi8ELi16ELi16ELi8ELi4ENS_8SequenceIJLi4ELi64ELi1EEEENS8_IJLi1ELi0ELi2EEEESA_Li2ELi8ELi8ELb0ELi1ES9_SA_SA_Li2ELi8ELi8ELb0ELi1ELi1ELi1ENS8_IJLi1ELi32ELi1ELi8EEEELi4ELNS_13LoopSchedulerE0ELNS_15PipelineVersionE0EDF16_Lb0EEEDF16_DF16_NS2_IJPKDF16_EEEDF16_S6_S6_S7_NS_16TensorDescriptorINS2_IJNS_5EmbedINS2_IJiiEEENS2_IJiNS_17integral_constantIiLi1EEEEEELb0EEENS_8RightPadIiiLb0EEESQ_NS_7UnMergeINS2_IJiNSL_IiLi8EEEEEELb0EEENS_11PassThroughIiEEEEENS2_IJNS8_IJLi0EEEENS8_IJLi1EEEENS8_IJLi2EEEENS8_IJLi4EEEENS8_IJLi3EEEEEEENS2_IJNS8_IJLi1ELi2EEEES12_S11_NS8_IJLi5ELi6EEEENS8_IJLi7EEEEEEENS8_IJLi5ELi7ELi6EEEElEES19_NS2_IJNSI_INS2_IJSO_SQ_SQ_NSR_INS2_IJiNSL_IiLi256EEEEEELb0EEENSR_INS2_IJiNSL_IiLi128EEEEEELb0EEEEEENS2_IJSY_SZ_S10_S12_S11_EEENS2_IJS14_S12_S11_S15_NS8_IJLi7ELi8EEEEEEENS8_IJLi5ELi6ELi7ELi8EEEElEEEEES1L_NS_31BlockToCTileMap_M00_N0_M01AdaptILi256ELi128ENSI_INS2_IJSO_SQ_SQ_EEENS2_IJSY_SZ_S10_EEENS2_IJS14_S12_S11_EEENS8_IJLi3ELi4EEEElEEiEELb0EEEvPKT0_PKT1_T2_PT3_T4_T5_T6_T7_T8_T9_T10_T11_,"axG",@progbits,_ZN2ck35kernel_gemm_multiple_d_xdl_cshuffleINS_34GridwiseGemmMultipleD_xdl_cshuffleIDF16_DF16_DF16_ffNS_5TupleIJDF16_EEEDF16_NS_16tensor_operation12element_wise11PassThroughES6_12AlphaBetaAddLi1ELi256ELi256ELi128ELi32ELi8ELi8ELi16ELi16ELi8ELi4ENS_8SequenceIJLi4ELi64ELi1EEEENS8_IJLi1ELi0ELi2EEEESA_Li2ELi8ELi8ELb0ELi1ES9_SA_SA_Li2ELi8ELi8ELb0ELi1ELi1ELi1ENS8_IJLi1ELi32ELi1ELi8EEEELi4ELNS_13LoopSchedulerE0ELNS_15PipelineVersionE0EDF16_Lb0EEEDF16_DF16_NS2_IJPKDF16_EEEDF16_S6_S6_S7_NS_16TensorDescriptorINS2_IJNS_5EmbedINS2_IJiiEEENS2_IJiNS_17integral_constantIiLi1EEEEEELb0EEENS_8RightPadIiiLb0EEESQ_NS_7UnMergeINS2_IJiNSL_IiLi8EEEEEELb0EEENS_11PassThroughIiEEEEENS2_IJNS8_IJLi0EEEENS8_IJLi1EEEENS8_IJLi2EEEENS8_IJLi4EEEENS8_IJLi3EEEEEEENS2_IJNS8_IJLi1ELi2EEEES12_S11_NS8_IJLi5ELi6EEEENS8_IJLi7EEEEEEENS8_IJLi5ELi7ELi6EEEElEES19_NS2_IJNSI_INS2_IJSO_SQ_SQ_NSR_INS2_IJiNSL_IiLi256EEEEEELb0EEENSR_INS2_IJiNSL_IiLi128EEEEEELb0EEEEEENS2_IJSY_SZ_S10_S12_S11_EEENS2_IJS14_S12_S11_S15_NS8_IJLi7ELi8EEEEEEENS8_IJLi5ELi6ELi7ELi8EEEElEEEEES1L_NS_31BlockToCTileMap_M00_N0_M01AdaptILi256ELi128ENSI_INS2_IJSO_SQ_SQ_EEENS2_IJSY_SZ_S10_EEENS2_IJS14_S12_S11_EEENS8_IJLi3ELi4EEEElEEiEELb0EEEvPKT0_PKT1_T2_PT3_T4_T5_T6_T7_T8_T9_T10_T11_,comdat
	.protected	_ZN2ck35kernel_gemm_multiple_d_xdl_cshuffleINS_34GridwiseGemmMultipleD_xdl_cshuffleIDF16_DF16_DF16_ffNS_5TupleIJDF16_EEEDF16_NS_16tensor_operation12element_wise11PassThroughES6_12AlphaBetaAddLi1ELi256ELi256ELi128ELi32ELi8ELi8ELi16ELi16ELi8ELi4ENS_8SequenceIJLi4ELi64ELi1EEEENS8_IJLi1ELi0ELi2EEEESA_Li2ELi8ELi8ELb0ELi1ES9_SA_SA_Li2ELi8ELi8ELb0ELi1ELi1ELi1ENS8_IJLi1ELi32ELi1ELi8EEEELi4ELNS_13LoopSchedulerE0ELNS_15PipelineVersionE0EDF16_Lb0EEEDF16_DF16_NS2_IJPKDF16_EEEDF16_S6_S6_S7_NS_16TensorDescriptorINS2_IJNS_5EmbedINS2_IJiiEEENS2_IJiNS_17integral_constantIiLi1EEEEEELb0EEENS_8RightPadIiiLb0EEESQ_NS_7UnMergeINS2_IJiNSL_IiLi8EEEEEELb0EEENS_11PassThroughIiEEEEENS2_IJNS8_IJLi0EEEENS8_IJLi1EEEENS8_IJLi2EEEENS8_IJLi4EEEENS8_IJLi3EEEEEEENS2_IJNS8_IJLi1ELi2EEEES12_S11_NS8_IJLi5ELi6EEEENS8_IJLi7EEEEEEENS8_IJLi5ELi7ELi6EEEElEES19_NS2_IJNSI_INS2_IJSO_SQ_SQ_NSR_INS2_IJiNSL_IiLi256EEEEEELb0EEENSR_INS2_IJiNSL_IiLi128EEEEEELb0EEEEEENS2_IJSY_SZ_S10_S12_S11_EEENS2_IJS14_S12_S11_S15_NS8_IJLi7ELi8EEEEEEENS8_IJLi5ELi6ELi7ELi8EEEElEEEEES1L_NS_31BlockToCTileMap_M00_N0_M01AdaptILi256ELi128ENSI_INS2_IJSO_SQ_SQ_EEENS2_IJSY_SZ_S10_EEENS2_IJS14_S12_S11_EEENS8_IJLi3ELi4EEEElEEiEELb0EEEvPKT0_PKT1_T2_PT3_T4_T5_T6_T7_T8_T9_T10_T11_ ; -- Begin function _ZN2ck35kernel_gemm_multiple_d_xdl_cshuffleINS_34GridwiseGemmMultipleD_xdl_cshuffleIDF16_DF16_DF16_ffNS_5TupleIJDF16_EEEDF16_NS_16tensor_operation12element_wise11PassThroughES6_12AlphaBetaAddLi1ELi256ELi256ELi128ELi32ELi8ELi8ELi16ELi16ELi8ELi4ENS_8SequenceIJLi4ELi64ELi1EEEENS8_IJLi1ELi0ELi2EEEESA_Li2ELi8ELi8ELb0ELi1ES9_SA_SA_Li2ELi8ELi8ELb0ELi1ELi1ELi1ENS8_IJLi1ELi32ELi1ELi8EEEELi4ELNS_13LoopSchedulerE0ELNS_15PipelineVersionE0EDF16_Lb0EEEDF16_DF16_NS2_IJPKDF16_EEEDF16_S6_S6_S7_NS_16TensorDescriptorINS2_IJNS_5EmbedINS2_IJiiEEENS2_IJiNS_17integral_constantIiLi1EEEEEELb0EEENS_8RightPadIiiLb0EEESQ_NS_7UnMergeINS2_IJiNSL_IiLi8EEEEEELb0EEENS_11PassThroughIiEEEEENS2_IJNS8_IJLi0EEEENS8_IJLi1EEEENS8_IJLi2EEEENS8_IJLi4EEEENS8_IJLi3EEEEEEENS2_IJNS8_IJLi1ELi2EEEES12_S11_NS8_IJLi5ELi6EEEENS8_IJLi7EEEEEEENS8_IJLi5ELi7ELi6EEEElEES19_NS2_IJNSI_INS2_IJSO_SQ_SQ_NSR_INS2_IJiNSL_IiLi256EEEEEELb0EEENSR_INS2_IJiNSL_IiLi128EEEEEELb0EEEEEENS2_IJSY_SZ_S10_S12_S11_EEENS2_IJS14_S12_S11_S15_NS8_IJLi7ELi8EEEEEEENS8_IJLi5ELi6ELi7ELi8EEEElEEEEES1L_NS_31BlockToCTileMap_M00_N0_M01AdaptILi256ELi128ENSI_INS2_IJSO_SQ_SQ_EEENS2_IJSY_SZ_S10_EEENS2_IJS14_S12_S11_EEENS8_IJLi3ELi4EEEElEEiEELb0EEEvPKT0_PKT1_T2_PT3_T4_T5_T6_T7_T8_T9_T10_T11_
	.globl	_ZN2ck35kernel_gemm_multiple_d_xdl_cshuffleINS_34GridwiseGemmMultipleD_xdl_cshuffleIDF16_DF16_DF16_ffNS_5TupleIJDF16_EEEDF16_NS_16tensor_operation12element_wise11PassThroughES6_12AlphaBetaAddLi1ELi256ELi256ELi128ELi32ELi8ELi8ELi16ELi16ELi8ELi4ENS_8SequenceIJLi4ELi64ELi1EEEENS8_IJLi1ELi0ELi2EEEESA_Li2ELi8ELi8ELb0ELi1ES9_SA_SA_Li2ELi8ELi8ELb0ELi1ELi1ELi1ENS8_IJLi1ELi32ELi1ELi8EEEELi4ELNS_13LoopSchedulerE0ELNS_15PipelineVersionE0EDF16_Lb0EEEDF16_DF16_NS2_IJPKDF16_EEEDF16_S6_S6_S7_NS_16TensorDescriptorINS2_IJNS_5EmbedINS2_IJiiEEENS2_IJiNS_17integral_constantIiLi1EEEEEELb0EEENS_8RightPadIiiLb0EEESQ_NS_7UnMergeINS2_IJiNSL_IiLi8EEEEEELb0EEENS_11PassThroughIiEEEEENS2_IJNS8_IJLi0EEEENS8_IJLi1EEEENS8_IJLi2EEEENS8_IJLi4EEEENS8_IJLi3EEEEEEENS2_IJNS8_IJLi1ELi2EEEES12_S11_NS8_IJLi5ELi6EEEENS8_IJLi7EEEEEEENS8_IJLi5ELi7ELi6EEEElEES19_NS2_IJNSI_INS2_IJSO_SQ_SQ_NSR_INS2_IJiNSL_IiLi256EEEEEELb0EEENSR_INS2_IJiNSL_IiLi128EEEEEELb0EEEEEENS2_IJSY_SZ_S10_S12_S11_EEENS2_IJS14_S12_S11_S15_NS8_IJLi7ELi8EEEEEEENS8_IJLi5ELi6ELi7ELi8EEEElEEEEES1L_NS_31BlockToCTileMap_M00_N0_M01AdaptILi256ELi128ENSI_INS2_IJSO_SQ_SQ_EEENS2_IJSY_SZ_S10_EEENS2_IJS14_S12_S11_EEENS8_IJLi3ELi4EEEElEEiEELb0EEEvPKT0_PKT1_T2_PT3_T4_T5_T6_T7_T8_T9_T10_T11_
	.p2align	8
	.type	_ZN2ck35kernel_gemm_multiple_d_xdl_cshuffleINS_34GridwiseGemmMultipleD_xdl_cshuffleIDF16_DF16_DF16_ffNS_5TupleIJDF16_EEEDF16_NS_16tensor_operation12element_wise11PassThroughES6_12AlphaBetaAddLi1ELi256ELi256ELi128ELi32ELi8ELi8ELi16ELi16ELi8ELi4ENS_8SequenceIJLi4ELi64ELi1EEEENS8_IJLi1ELi0ELi2EEEESA_Li2ELi8ELi8ELb0ELi1ES9_SA_SA_Li2ELi8ELi8ELb0ELi1ELi1ELi1ENS8_IJLi1ELi32ELi1ELi8EEEELi4ELNS_13LoopSchedulerE0ELNS_15PipelineVersionE0EDF16_Lb0EEEDF16_DF16_NS2_IJPKDF16_EEEDF16_S6_S6_S7_NS_16TensorDescriptorINS2_IJNS_5EmbedINS2_IJiiEEENS2_IJiNS_17integral_constantIiLi1EEEEEELb0EEENS_8RightPadIiiLb0EEESQ_NS_7UnMergeINS2_IJiNSL_IiLi8EEEEEELb0EEENS_11PassThroughIiEEEEENS2_IJNS8_IJLi0EEEENS8_IJLi1EEEENS8_IJLi2EEEENS8_IJLi4EEEENS8_IJLi3EEEEEEENS2_IJNS8_IJLi1ELi2EEEES12_S11_NS8_IJLi5ELi6EEEENS8_IJLi7EEEEEEENS8_IJLi5ELi7ELi6EEEElEES19_NS2_IJNSI_INS2_IJSO_SQ_SQ_NSR_INS2_IJiNSL_IiLi256EEEEEELb0EEENSR_INS2_IJiNSL_IiLi128EEEEEELb0EEEEEENS2_IJSY_SZ_S10_S12_S11_EEENS2_IJS14_S12_S11_S15_NS8_IJLi7ELi8EEEEEEENS8_IJLi5ELi6ELi7ELi8EEEElEEEEES1L_NS_31BlockToCTileMap_M00_N0_M01AdaptILi256ELi128ENSI_INS2_IJSO_SQ_SQ_EEENS2_IJSY_SZ_S10_EEENS2_IJS14_S12_S11_EEENS8_IJLi3ELi4EEEElEEiEELb0EEEvPKT0_PKT1_T2_PT3_T4_T5_T6_T7_T8_T9_T10_T11_,@function
_ZN2ck35kernel_gemm_multiple_d_xdl_cshuffleINS_34GridwiseGemmMultipleD_xdl_cshuffleIDF16_DF16_DF16_ffNS_5TupleIJDF16_EEEDF16_NS_16tensor_operation12element_wise11PassThroughES6_12AlphaBetaAddLi1ELi256ELi256ELi128ELi32ELi8ELi8ELi16ELi16ELi8ELi4ENS_8SequenceIJLi4ELi64ELi1EEEENS8_IJLi1ELi0ELi2EEEESA_Li2ELi8ELi8ELb0ELi1ES9_SA_SA_Li2ELi8ELi8ELb0ELi1ELi1ELi1ENS8_IJLi1ELi32ELi1ELi8EEEELi4ELNS_13LoopSchedulerE0ELNS_15PipelineVersionE0EDF16_Lb0EEEDF16_DF16_NS2_IJPKDF16_EEEDF16_S6_S6_S7_NS_16TensorDescriptorINS2_IJNS_5EmbedINS2_IJiiEEENS2_IJiNS_17integral_constantIiLi1EEEEEELb0EEENS_8RightPadIiiLb0EEESQ_NS_7UnMergeINS2_IJiNSL_IiLi8EEEEEELb0EEENS_11PassThroughIiEEEEENS2_IJNS8_IJLi0EEEENS8_IJLi1EEEENS8_IJLi2EEEENS8_IJLi4EEEENS8_IJLi3EEEEEEENS2_IJNS8_IJLi1ELi2EEEES12_S11_NS8_IJLi5ELi6EEEENS8_IJLi7EEEEEEENS8_IJLi5ELi7ELi6EEEElEES19_NS2_IJNSI_INS2_IJSO_SQ_SQ_NSR_INS2_IJiNSL_IiLi256EEEEEELb0EEENSR_INS2_IJiNSL_IiLi128EEEEEELb0EEEEEENS2_IJSY_SZ_S10_S12_S11_EEENS2_IJS14_S12_S11_S15_NS8_IJLi7ELi8EEEEEEENS8_IJLi5ELi6ELi7ELi8EEEElEEEEES1L_NS_31BlockToCTileMap_M00_N0_M01AdaptILi256ELi128ENSI_INS2_IJSO_SQ_SQ_EEENS2_IJSY_SZ_S10_EEENS2_IJS14_S12_S11_EEENS8_IJLi3ELi4EEEElEEiEELb0EEEvPKT0_PKT1_T2_PT3_T4_T5_T6_T7_T8_T9_T10_T11_: ; @_ZN2ck35kernel_gemm_multiple_d_xdl_cshuffleINS_34GridwiseGemmMultipleD_xdl_cshuffleIDF16_DF16_DF16_ffNS_5TupleIJDF16_EEEDF16_NS_16tensor_operation12element_wise11PassThroughES6_12AlphaBetaAddLi1ELi256ELi256ELi128ELi32ELi8ELi8ELi16ELi16ELi8ELi4ENS_8SequenceIJLi4ELi64ELi1EEEENS8_IJLi1ELi0ELi2EEEESA_Li2ELi8ELi8ELb0ELi1ES9_SA_SA_Li2ELi8ELi8ELb0ELi1ELi1ELi1ENS8_IJLi1ELi32ELi1ELi8EEEELi4ELNS_13LoopSchedulerE0ELNS_15PipelineVersionE0EDF16_Lb0EEEDF16_DF16_NS2_IJPKDF16_EEEDF16_S6_S6_S7_NS_16TensorDescriptorINS2_IJNS_5EmbedINS2_IJiiEEENS2_IJiNS_17integral_constantIiLi1EEEEEELb0EEENS_8RightPadIiiLb0EEESQ_NS_7UnMergeINS2_IJiNSL_IiLi8EEEEEELb0EEENS_11PassThroughIiEEEEENS2_IJNS8_IJLi0EEEENS8_IJLi1EEEENS8_IJLi2EEEENS8_IJLi4EEEENS8_IJLi3EEEEEEENS2_IJNS8_IJLi1ELi2EEEES12_S11_NS8_IJLi5ELi6EEEENS8_IJLi7EEEEEEENS8_IJLi5ELi7ELi6EEEElEES19_NS2_IJNSI_INS2_IJSO_SQ_SQ_NSR_INS2_IJiNSL_IiLi256EEEEEELb0EEENSR_INS2_IJiNSL_IiLi128EEEEEELb0EEEEEENS2_IJSY_SZ_S10_S12_S11_EEENS2_IJS14_S12_S11_S15_NS8_IJLi7ELi8EEEEEEENS8_IJLi5ELi6ELi7ELi8EEEElEEEEES1L_NS_31BlockToCTileMap_M00_N0_M01AdaptILi256ELi128ENSI_INS2_IJSO_SQ_SQ_EEENS2_IJSY_SZ_S10_EEENS2_IJS14_S12_S11_EEENS8_IJLi3ELi4EEEElEEiEELb0EEEvPKT0_PKT1_T2_PT3_T4_T5_T6_T7_T8_T9_T10_T11_
; %bb.0:
	s_endpgm
	.section	.rodata,"a",@progbits
	.p2align	6, 0x0
	.amdhsa_kernel _ZN2ck35kernel_gemm_multiple_d_xdl_cshuffleINS_34GridwiseGemmMultipleD_xdl_cshuffleIDF16_DF16_DF16_ffNS_5TupleIJDF16_EEEDF16_NS_16tensor_operation12element_wise11PassThroughES6_12AlphaBetaAddLi1ELi256ELi256ELi128ELi32ELi8ELi8ELi16ELi16ELi8ELi4ENS_8SequenceIJLi4ELi64ELi1EEEENS8_IJLi1ELi0ELi2EEEESA_Li2ELi8ELi8ELb0ELi1ES9_SA_SA_Li2ELi8ELi8ELb0ELi1ELi1ELi1ENS8_IJLi1ELi32ELi1ELi8EEEELi4ELNS_13LoopSchedulerE0ELNS_15PipelineVersionE0EDF16_Lb0EEEDF16_DF16_NS2_IJPKDF16_EEEDF16_S6_S6_S7_NS_16TensorDescriptorINS2_IJNS_5EmbedINS2_IJiiEEENS2_IJiNS_17integral_constantIiLi1EEEEEELb0EEENS_8RightPadIiiLb0EEESQ_NS_7UnMergeINS2_IJiNSL_IiLi8EEEEEELb0EEENS_11PassThroughIiEEEEENS2_IJNS8_IJLi0EEEENS8_IJLi1EEEENS8_IJLi2EEEENS8_IJLi4EEEENS8_IJLi3EEEEEEENS2_IJNS8_IJLi1ELi2EEEES12_S11_NS8_IJLi5ELi6EEEENS8_IJLi7EEEEEEENS8_IJLi5ELi7ELi6EEEElEES19_NS2_IJNSI_INS2_IJSO_SQ_SQ_NSR_INS2_IJiNSL_IiLi256EEEEEELb0EEENSR_INS2_IJiNSL_IiLi128EEEEEELb0EEEEEENS2_IJSY_SZ_S10_S12_S11_EEENS2_IJS14_S12_S11_S15_NS8_IJLi7ELi8EEEEEEENS8_IJLi5ELi6ELi7ELi8EEEElEEEEES1L_NS_31BlockToCTileMap_M00_N0_M01AdaptILi256ELi128ENSI_INS2_IJSO_SQ_SQ_EEENS2_IJSY_SZ_S10_EEENS2_IJS14_S12_S11_EEENS8_IJLi3ELi4EEEElEEiEELb0EEEvPKT0_PKT1_T2_PT3_T4_T5_T6_T7_T8_T9_T10_T11_
		.amdhsa_group_segment_fixed_size 0
		.amdhsa_private_segment_fixed_size 0
		.amdhsa_kernarg_size 364
		.amdhsa_user_sgpr_count 2
		.amdhsa_user_sgpr_dispatch_ptr 0
		.amdhsa_user_sgpr_queue_ptr 0
		.amdhsa_user_sgpr_kernarg_segment_ptr 1
		.amdhsa_user_sgpr_dispatch_id 0
		.amdhsa_user_sgpr_private_segment_size 0
		.amdhsa_wavefront_size32 1
		.amdhsa_uses_dynamic_stack 0
		.amdhsa_enable_private_segment 0
		.amdhsa_system_sgpr_workgroup_id_x 1
		.amdhsa_system_sgpr_workgroup_id_y 0
		.amdhsa_system_sgpr_workgroup_id_z 0
		.amdhsa_system_sgpr_workgroup_info 0
		.amdhsa_system_vgpr_workitem_id 0
		.amdhsa_next_free_vgpr 1
		.amdhsa_next_free_sgpr 1
		.amdhsa_reserve_vcc 0
		.amdhsa_float_round_mode_32 0
		.amdhsa_float_round_mode_16_64 0
		.amdhsa_float_denorm_mode_32 3
		.amdhsa_float_denorm_mode_16_64 3
		.amdhsa_fp16_overflow 0
		.amdhsa_workgroup_processor_mode 1
		.amdhsa_memory_ordered 1
		.amdhsa_forward_progress 1
		.amdhsa_inst_pref_size 1
		.amdhsa_round_robin_scheduling 0
		.amdhsa_exception_fp_ieee_invalid_op 0
		.amdhsa_exception_fp_denorm_src 0
		.amdhsa_exception_fp_ieee_div_zero 0
		.amdhsa_exception_fp_ieee_overflow 0
		.amdhsa_exception_fp_ieee_underflow 0
		.amdhsa_exception_fp_ieee_inexact 0
		.amdhsa_exception_int_div_zero 0
	.end_amdhsa_kernel
	.section	.text._ZN2ck35kernel_gemm_multiple_d_xdl_cshuffleINS_34GridwiseGemmMultipleD_xdl_cshuffleIDF16_DF16_DF16_ffNS_5TupleIJDF16_EEEDF16_NS_16tensor_operation12element_wise11PassThroughES6_12AlphaBetaAddLi1ELi256ELi256ELi128ELi32ELi8ELi8ELi16ELi16ELi8ELi4ENS_8SequenceIJLi4ELi64ELi1EEEENS8_IJLi1ELi0ELi2EEEESA_Li2ELi8ELi8ELb0ELi1ES9_SA_SA_Li2ELi8ELi8ELb0ELi1ELi1ELi1ENS8_IJLi1ELi32ELi1ELi8EEEELi4ELNS_13LoopSchedulerE0ELNS_15PipelineVersionE0EDF16_Lb0EEEDF16_DF16_NS2_IJPKDF16_EEEDF16_S6_S6_S7_NS_16TensorDescriptorINS2_IJNS_5EmbedINS2_IJiiEEENS2_IJiNS_17integral_constantIiLi1EEEEEELb0EEENS_8RightPadIiiLb0EEESQ_NS_7UnMergeINS2_IJiNSL_IiLi8EEEEEELb0EEENS_11PassThroughIiEEEEENS2_IJNS8_IJLi0EEEENS8_IJLi1EEEENS8_IJLi2EEEENS8_IJLi4EEEENS8_IJLi3EEEEEEENS2_IJNS8_IJLi1ELi2EEEES12_S11_NS8_IJLi5ELi6EEEENS8_IJLi7EEEEEEENS8_IJLi5ELi7ELi6EEEElEES19_NS2_IJNSI_INS2_IJSO_SQ_SQ_NSR_INS2_IJiNSL_IiLi256EEEEEELb0EEENSR_INS2_IJiNSL_IiLi128EEEEEELb0EEEEEENS2_IJSY_SZ_S10_S12_S11_EEENS2_IJS14_S12_S11_S15_NS8_IJLi7ELi8EEEEEEENS8_IJLi5ELi6ELi7ELi8EEEElEEEEES1L_NS_31BlockToCTileMap_M00_N0_M01AdaptILi256ELi128ENSI_INS2_IJSO_SQ_SQ_EEENS2_IJSY_SZ_S10_EEENS2_IJS14_S12_S11_EEENS8_IJLi3ELi4EEEElEEiEELb0EEEvPKT0_PKT1_T2_PT3_T4_T5_T6_T7_T8_T9_T10_T11_,"axG",@progbits,_ZN2ck35kernel_gemm_multiple_d_xdl_cshuffleINS_34GridwiseGemmMultipleD_xdl_cshuffleIDF16_DF16_DF16_ffNS_5TupleIJDF16_EEEDF16_NS_16tensor_operation12element_wise11PassThroughES6_12AlphaBetaAddLi1ELi256ELi256ELi128ELi32ELi8ELi8ELi16ELi16ELi8ELi4ENS_8SequenceIJLi4ELi64ELi1EEEENS8_IJLi1ELi0ELi2EEEESA_Li2ELi8ELi8ELb0ELi1ES9_SA_SA_Li2ELi8ELi8ELb0ELi1ELi1ELi1ENS8_IJLi1ELi32ELi1ELi8EEEELi4ELNS_13LoopSchedulerE0ELNS_15PipelineVersionE0EDF16_Lb0EEEDF16_DF16_NS2_IJPKDF16_EEEDF16_S6_S6_S7_NS_16TensorDescriptorINS2_IJNS_5EmbedINS2_IJiiEEENS2_IJiNS_17integral_constantIiLi1EEEEEELb0EEENS_8RightPadIiiLb0EEESQ_NS_7UnMergeINS2_IJiNSL_IiLi8EEEEEELb0EEENS_11PassThroughIiEEEEENS2_IJNS8_IJLi0EEEENS8_IJLi1EEEENS8_IJLi2EEEENS8_IJLi4EEEENS8_IJLi3EEEEEEENS2_IJNS8_IJLi1ELi2EEEES12_S11_NS8_IJLi5ELi6EEEENS8_IJLi7EEEEEEENS8_IJLi5ELi7ELi6EEEElEES19_NS2_IJNSI_INS2_IJSO_SQ_SQ_NSR_INS2_IJiNSL_IiLi256EEEEEELb0EEENSR_INS2_IJiNSL_IiLi128EEEEEELb0EEEEEENS2_IJSY_SZ_S10_S12_S11_EEENS2_IJS14_S12_S11_S15_NS8_IJLi7ELi8EEEEEEENS8_IJLi5ELi6ELi7ELi8EEEElEEEEES1L_NS_31BlockToCTileMap_M00_N0_M01AdaptILi256ELi128ENSI_INS2_IJSO_SQ_SQ_EEENS2_IJSY_SZ_S10_EEENS2_IJS14_S12_S11_EEENS8_IJLi3ELi4EEEElEEiEELb0EEEvPKT0_PKT1_T2_PT3_T4_T5_T6_T7_T8_T9_T10_T11_,comdat
.Lfunc_end2:
	.size	_ZN2ck35kernel_gemm_multiple_d_xdl_cshuffleINS_34GridwiseGemmMultipleD_xdl_cshuffleIDF16_DF16_DF16_ffNS_5TupleIJDF16_EEEDF16_NS_16tensor_operation12element_wise11PassThroughES6_12AlphaBetaAddLi1ELi256ELi256ELi128ELi32ELi8ELi8ELi16ELi16ELi8ELi4ENS_8SequenceIJLi4ELi64ELi1EEEENS8_IJLi1ELi0ELi2EEEESA_Li2ELi8ELi8ELb0ELi1ES9_SA_SA_Li2ELi8ELi8ELb0ELi1ELi1ELi1ENS8_IJLi1ELi32ELi1ELi8EEEELi4ELNS_13LoopSchedulerE0ELNS_15PipelineVersionE0EDF16_Lb0EEEDF16_DF16_NS2_IJPKDF16_EEEDF16_S6_S6_S7_NS_16TensorDescriptorINS2_IJNS_5EmbedINS2_IJiiEEENS2_IJiNS_17integral_constantIiLi1EEEEEELb0EEENS_8RightPadIiiLb0EEESQ_NS_7UnMergeINS2_IJiNSL_IiLi8EEEEEELb0EEENS_11PassThroughIiEEEEENS2_IJNS8_IJLi0EEEENS8_IJLi1EEEENS8_IJLi2EEEENS8_IJLi4EEEENS8_IJLi3EEEEEEENS2_IJNS8_IJLi1ELi2EEEES12_S11_NS8_IJLi5ELi6EEEENS8_IJLi7EEEEEEENS8_IJLi5ELi7ELi6EEEElEES19_NS2_IJNSI_INS2_IJSO_SQ_SQ_NSR_INS2_IJiNSL_IiLi256EEEEEELb0EEENSR_INS2_IJiNSL_IiLi128EEEEEELb0EEEEEENS2_IJSY_SZ_S10_S12_S11_EEENS2_IJS14_S12_S11_S15_NS8_IJLi7ELi8EEEEEEENS8_IJLi5ELi6ELi7ELi8EEEElEEEEES1L_NS_31BlockToCTileMap_M00_N0_M01AdaptILi256ELi128ENSI_INS2_IJSO_SQ_SQ_EEENS2_IJSY_SZ_S10_EEENS2_IJS14_S12_S11_EEENS8_IJLi3ELi4EEEElEEiEELb0EEEvPKT0_PKT1_T2_PT3_T4_T5_T6_T7_T8_T9_T10_T11_, .Lfunc_end2-_ZN2ck35kernel_gemm_multiple_d_xdl_cshuffleINS_34GridwiseGemmMultipleD_xdl_cshuffleIDF16_DF16_DF16_ffNS_5TupleIJDF16_EEEDF16_NS_16tensor_operation12element_wise11PassThroughES6_12AlphaBetaAddLi1ELi256ELi256ELi128ELi32ELi8ELi8ELi16ELi16ELi8ELi4ENS_8SequenceIJLi4ELi64ELi1EEEENS8_IJLi1ELi0ELi2EEEESA_Li2ELi8ELi8ELb0ELi1ES9_SA_SA_Li2ELi8ELi8ELb0ELi1ELi1ELi1ENS8_IJLi1ELi32ELi1ELi8EEEELi4ELNS_13LoopSchedulerE0ELNS_15PipelineVersionE0EDF16_Lb0EEEDF16_DF16_NS2_IJPKDF16_EEEDF16_S6_S6_S7_NS_16TensorDescriptorINS2_IJNS_5EmbedINS2_IJiiEEENS2_IJiNS_17integral_constantIiLi1EEEEEELb0EEENS_8RightPadIiiLb0EEESQ_NS_7UnMergeINS2_IJiNSL_IiLi8EEEEEELb0EEENS_11PassThroughIiEEEEENS2_IJNS8_IJLi0EEEENS8_IJLi1EEEENS8_IJLi2EEEENS8_IJLi4EEEENS8_IJLi3EEEEEEENS2_IJNS8_IJLi1ELi2EEEES12_S11_NS8_IJLi5ELi6EEEENS8_IJLi7EEEEEEENS8_IJLi5ELi7ELi6EEEElEES19_NS2_IJNSI_INS2_IJSO_SQ_SQ_NSR_INS2_IJiNSL_IiLi256EEEEEELb0EEENSR_INS2_IJiNSL_IiLi128EEEEEELb0EEEEEENS2_IJSY_SZ_S10_S12_S11_EEENS2_IJS14_S12_S11_S15_NS8_IJLi7ELi8EEEEEEENS8_IJLi5ELi6ELi7ELi8EEEElEEEEES1L_NS_31BlockToCTileMap_M00_N0_M01AdaptILi256ELi128ENSI_INS2_IJSO_SQ_SQ_EEENS2_IJSY_SZ_S10_EEENS2_IJS14_S12_S11_EEENS8_IJLi3ELi4EEEElEEiEELb0EEEvPKT0_PKT1_T2_PT3_T4_T5_T6_T7_T8_T9_T10_T11_
                                        ; -- End function
	.set _ZN2ck35kernel_gemm_multiple_d_xdl_cshuffleINS_34GridwiseGemmMultipleD_xdl_cshuffleIDF16_DF16_DF16_ffNS_5TupleIJDF16_EEEDF16_NS_16tensor_operation12element_wise11PassThroughES6_12AlphaBetaAddLi1ELi256ELi256ELi128ELi32ELi8ELi8ELi16ELi16ELi8ELi4ENS_8SequenceIJLi4ELi64ELi1EEEENS8_IJLi1ELi0ELi2EEEESA_Li2ELi8ELi8ELb0ELi1ES9_SA_SA_Li2ELi8ELi8ELb0ELi1ELi1ELi1ENS8_IJLi1ELi32ELi1ELi8EEEELi4ELNS_13LoopSchedulerE0ELNS_15PipelineVersionE0EDF16_Lb0EEEDF16_DF16_NS2_IJPKDF16_EEEDF16_S6_S6_S7_NS_16TensorDescriptorINS2_IJNS_5EmbedINS2_IJiiEEENS2_IJiNS_17integral_constantIiLi1EEEEEELb0EEENS_8RightPadIiiLb0EEESQ_NS_7UnMergeINS2_IJiNSL_IiLi8EEEEEELb0EEENS_11PassThroughIiEEEEENS2_IJNS8_IJLi0EEEENS8_IJLi1EEEENS8_IJLi2EEEENS8_IJLi4EEEENS8_IJLi3EEEEEEENS2_IJNS8_IJLi1ELi2EEEES12_S11_NS8_IJLi5ELi6EEEENS8_IJLi7EEEEEEENS8_IJLi5ELi7ELi6EEEElEES19_NS2_IJNSI_INS2_IJSO_SQ_SQ_NSR_INS2_IJiNSL_IiLi256EEEEEELb0EEENSR_INS2_IJiNSL_IiLi128EEEEEELb0EEEEEENS2_IJSY_SZ_S10_S12_S11_EEENS2_IJS14_S12_S11_S15_NS8_IJLi7ELi8EEEEEEENS8_IJLi5ELi6ELi7ELi8EEEElEEEEES1L_NS_31BlockToCTileMap_M00_N0_M01AdaptILi256ELi128ENSI_INS2_IJSO_SQ_SQ_EEENS2_IJSY_SZ_S10_EEENS2_IJS14_S12_S11_EEENS8_IJLi3ELi4EEEElEEiEELb0EEEvPKT0_PKT1_T2_PT3_T4_T5_T6_T7_T8_T9_T10_T11_.num_vgpr, 0
	.set _ZN2ck35kernel_gemm_multiple_d_xdl_cshuffleINS_34GridwiseGemmMultipleD_xdl_cshuffleIDF16_DF16_DF16_ffNS_5TupleIJDF16_EEEDF16_NS_16tensor_operation12element_wise11PassThroughES6_12AlphaBetaAddLi1ELi256ELi256ELi128ELi32ELi8ELi8ELi16ELi16ELi8ELi4ENS_8SequenceIJLi4ELi64ELi1EEEENS8_IJLi1ELi0ELi2EEEESA_Li2ELi8ELi8ELb0ELi1ES9_SA_SA_Li2ELi8ELi8ELb0ELi1ELi1ELi1ENS8_IJLi1ELi32ELi1ELi8EEEELi4ELNS_13LoopSchedulerE0ELNS_15PipelineVersionE0EDF16_Lb0EEEDF16_DF16_NS2_IJPKDF16_EEEDF16_S6_S6_S7_NS_16TensorDescriptorINS2_IJNS_5EmbedINS2_IJiiEEENS2_IJiNS_17integral_constantIiLi1EEEEEELb0EEENS_8RightPadIiiLb0EEESQ_NS_7UnMergeINS2_IJiNSL_IiLi8EEEEEELb0EEENS_11PassThroughIiEEEEENS2_IJNS8_IJLi0EEEENS8_IJLi1EEEENS8_IJLi2EEEENS8_IJLi4EEEENS8_IJLi3EEEEEEENS2_IJNS8_IJLi1ELi2EEEES12_S11_NS8_IJLi5ELi6EEEENS8_IJLi7EEEEEEENS8_IJLi5ELi7ELi6EEEElEES19_NS2_IJNSI_INS2_IJSO_SQ_SQ_NSR_INS2_IJiNSL_IiLi256EEEEEELb0EEENSR_INS2_IJiNSL_IiLi128EEEEEELb0EEEEEENS2_IJSY_SZ_S10_S12_S11_EEENS2_IJS14_S12_S11_S15_NS8_IJLi7ELi8EEEEEEENS8_IJLi5ELi6ELi7ELi8EEEElEEEEES1L_NS_31BlockToCTileMap_M00_N0_M01AdaptILi256ELi128ENSI_INS2_IJSO_SQ_SQ_EEENS2_IJSY_SZ_S10_EEENS2_IJS14_S12_S11_EEENS8_IJLi3ELi4EEEElEEiEELb0EEEvPKT0_PKT1_T2_PT3_T4_T5_T6_T7_T8_T9_T10_T11_.num_agpr, 0
	.set _ZN2ck35kernel_gemm_multiple_d_xdl_cshuffleINS_34GridwiseGemmMultipleD_xdl_cshuffleIDF16_DF16_DF16_ffNS_5TupleIJDF16_EEEDF16_NS_16tensor_operation12element_wise11PassThroughES6_12AlphaBetaAddLi1ELi256ELi256ELi128ELi32ELi8ELi8ELi16ELi16ELi8ELi4ENS_8SequenceIJLi4ELi64ELi1EEEENS8_IJLi1ELi0ELi2EEEESA_Li2ELi8ELi8ELb0ELi1ES9_SA_SA_Li2ELi8ELi8ELb0ELi1ELi1ELi1ENS8_IJLi1ELi32ELi1ELi8EEEELi4ELNS_13LoopSchedulerE0ELNS_15PipelineVersionE0EDF16_Lb0EEEDF16_DF16_NS2_IJPKDF16_EEEDF16_S6_S6_S7_NS_16TensorDescriptorINS2_IJNS_5EmbedINS2_IJiiEEENS2_IJiNS_17integral_constantIiLi1EEEEEELb0EEENS_8RightPadIiiLb0EEESQ_NS_7UnMergeINS2_IJiNSL_IiLi8EEEEEELb0EEENS_11PassThroughIiEEEEENS2_IJNS8_IJLi0EEEENS8_IJLi1EEEENS8_IJLi2EEEENS8_IJLi4EEEENS8_IJLi3EEEEEEENS2_IJNS8_IJLi1ELi2EEEES12_S11_NS8_IJLi5ELi6EEEENS8_IJLi7EEEEEEENS8_IJLi5ELi7ELi6EEEElEES19_NS2_IJNSI_INS2_IJSO_SQ_SQ_NSR_INS2_IJiNSL_IiLi256EEEEEELb0EEENSR_INS2_IJiNSL_IiLi128EEEEEELb0EEEEEENS2_IJSY_SZ_S10_S12_S11_EEENS2_IJS14_S12_S11_S15_NS8_IJLi7ELi8EEEEEEENS8_IJLi5ELi6ELi7ELi8EEEElEEEEES1L_NS_31BlockToCTileMap_M00_N0_M01AdaptILi256ELi128ENSI_INS2_IJSO_SQ_SQ_EEENS2_IJSY_SZ_S10_EEENS2_IJS14_S12_S11_EEENS8_IJLi3ELi4EEEElEEiEELb0EEEvPKT0_PKT1_T2_PT3_T4_T5_T6_T7_T8_T9_T10_T11_.numbered_sgpr, 0
	.set _ZN2ck35kernel_gemm_multiple_d_xdl_cshuffleINS_34GridwiseGemmMultipleD_xdl_cshuffleIDF16_DF16_DF16_ffNS_5TupleIJDF16_EEEDF16_NS_16tensor_operation12element_wise11PassThroughES6_12AlphaBetaAddLi1ELi256ELi256ELi128ELi32ELi8ELi8ELi16ELi16ELi8ELi4ENS_8SequenceIJLi4ELi64ELi1EEEENS8_IJLi1ELi0ELi2EEEESA_Li2ELi8ELi8ELb0ELi1ES9_SA_SA_Li2ELi8ELi8ELb0ELi1ELi1ELi1ENS8_IJLi1ELi32ELi1ELi8EEEELi4ELNS_13LoopSchedulerE0ELNS_15PipelineVersionE0EDF16_Lb0EEEDF16_DF16_NS2_IJPKDF16_EEEDF16_S6_S6_S7_NS_16TensorDescriptorINS2_IJNS_5EmbedINS2_IJiiEEENS2_IJiNS_17integral_constantIiLi1EEEEEELb0EEENS_8RightPadIiiLb0EEESQ_NS_7UnMergeINS2_IJiNSL_IiLi8EEEEEELb0EEENS_11PassThroughIiEEEEENS2_IJNS8_IJLi0EEEENS8_IJLi1EEEENS8_IJLi2EEEENS8_IJLi4EEEENS8_IJLi3EEEEEEENS2_IJNS8_IJLi1ELi2EEEES12_S11_NS8_IJLi5ELi6EEEENS8_IJLi7EEEEEEENS8_IJLi5ELi7ELi6EEEElEES19_NS2_IJNSI_INS2_IJSO_SQ_SQ_NSR_INS2_IJiNSL_IiLi256EEEEEELb0EEENSR_INS2_IJiNSL_IiLi128EEEEEELb0EEEEEENS2_IJSY_SZ_S10_S12_S11_EEENS2_IJS14_S12_S11_S15_NS8_IJLi7ELi8EEEEEEENS8_IJLi5ELi6ELi7ELi8EEEElEEEEES1L_NS_31BlockToCTileMap_M00_N0_M01AdaptILi256ELi128ENSI_INS2_IJSO_SQ_SQ_EEENS2_IJSY_SZ_S10_EEENS2_IJS14_S12_S11_EEENS8_IJLi3ELi4EEEElEEiEELb0EEEvPKT0_PKT1_T2_PT3_T4_T5_T6_T7_T8_T9_T10_T11_.num_named_barrier, 0
	.set _ZN2ck35kernel_gemm_multiple_d_xdl_cshuffleINS_34GridwiseGemmMultipleD_xdl_cshuffleIDF16_DF16_DF16_ffNS_5TupleIJDF16_EEEDF16_NS_16tensor_operation12element_wise11PassThroughES6_12AlphaBetaAddLi1ELi256ELi256ELi128ELi32ELi8ELi8ELi16ELi16ELi8ELi4ENS_8SequenceIJLi4ELi64ELi1EEEENS8_IJLi1ELi0ELi2EEEESA_Li2ELi8ELi8ELb0ELi1ES9_SA_SA_Li2ELi8ELi8ELb0ELi1ELi1ELi1ENS8_IJLi1ELi32ELi1ELi8EEEELi4ELNS_13LoopSchedulerE0ELNS_15PipelineVersionE0EDF16_Lb0EEEDF16_DF16_NS2_IJPKDF16_EEEDF16_S6_S6_S7_NS_16TensorDescriptorINS2_IJNS_5EmbedINS2_IJiiEEENS2_IJiNS_17integral_constantIiLi1EEEEEELb0EEENS_8RightPadIiiLb0EEESQ_NS_7UnMergeINS2_IJiNSL_IiLi8EEEEEELb0EEENS_11PassThroughIiEEEEENS2_IJNS8_IJLi0EEEENS8_IJLi1EEEENS8_IJLi2EEEENS8_IJLi4EEEENS8_IJLi3EEEEEEENS2_IJNS8_IJLi1ELi2EEEES12_S11_NS8_IJLi5ELi6EEEENS8_IJLi7EEEEEEENS8_IJLi5ELi7ELi6EEEElEES19_NS2_IJNSI_INS2_IJSO_SQ_SQ_NSR_INS2_IJiNSL_IiLi256EEEEEELb0EEENSR_INS2_IJiNSL_IiLi128EEEEEELb0EEEEEENS2_IJSY_SZ_S10_S12_S11_EEENS2_IJS14_S12_S11_S15_NS8_IJLi7ELi8EEEEEEENS8_IJLi5ELi6ELi7ELi8EEEElEEEEES1L_NS_31BlockToCTileMap_M00_N0_M01AdaptILi256ELi128ENSI_INS2_IJSO_SQ_SQ_EEENS2_IJSY_SZ_S10_EEENS2_IJS14_S12_S11_EEENS8_IJLi3ELi4EEEElEEiEELb0EEEvPKT0_PKT1_T2_PT3_T4_T5_T6_T7_T8_T9_T10_T11_.private_seg_size, 0
	.set _ZN2ck35kernel_gemm_multiple_d_xdl_cshuffleINS_34GridwiseGemmMultipleD_xdl_cshuffleIDF16_DF16_DF16_ffNS_5TupleIJDF16_EEEDF16_NS_16tensor_operation12element_wise11PassThroughES6_12AlphaBetaAddLi1ELi256ELi256ELi128ELi32ELi8ELi8ELi16ELi16ELi8ELi4ENS_8SequenceIJLi4ELi64ELi1EEEENS8_IJLi1ELi0ELi2EEEESA_Li2ELi8ELi8ELb0ELi1ES9_SA_SA_Li2ELi8ELi8ELb0ELi1ELi1ELi1ENS8_IJLi1ELi32ELi1ELi8EEEELi4ELNS_13LoopSchedulerE0ELNS_15PipelineVersionE0EDF16_Lb0EEEDF16_DF16_NS2_IJPKDF16_EEEDF16_S6_S6_S7_NS_16TensorDescriptorINS2_IJNS_5EmbedINS2_IJiiEEENS2_IJiNS_17integral_constantIiLi1EEEEEELb0EEENS_8RightPadIiiLb0EEESQ_NS_7UnMergeINS2_IJiNSL_IiLi8EEEEEELb0EEENS_11PassThroughIiEEEEENS2_IJNS8_IJLi0EEEENS8_IJLi1EEEENS8_IJLi2EEEENS8_IJLi4EEEENS8_IJLi3EEEEEEENS2_IJNS8_IJLi1ELi2EEEES12_S11_NS8_IJLi5ELi6EEEENS8_IJLi7EEEEEEENS8_IJLi5ELi7ELi6EEEElEES19_NS2_IJNSI_INS2_IJSO_SQ_SQ_NSR_INS2_IJiNSL_IiLi256EEEEEELb0EEENSR_INS2_IJiNSL_IiLi128EEEEEELb0EEEEEENS2_IJSY_SZ_S10_S12_S11_EEENS2_IJS14_S12_S11_S15_NS8_IJLi7ELi8EEEEEEENS8_IJLi5ELi6ELi7ELi8EEEElEEEEES1L_NS_31BlockToCTileMap_M00_N0_M01AdaptILi256ELi128ENSI_INS2_IJSO_SQ_SQ_EEENS2_IJSY_SZ_S10_EEENS2_IJS14_S12_S11_EEENS8_IJLi3ELi4EEEElEEiEELb0EEEvPKT0_PKT1_T2_PT3_T4_T5_T6_T7_T8_T9_T10_T11_.uses_vcc, 0
	.set _ZN2ck35kernel_gemm_multiple_d_xdl_cshuffleINS_34GridwiseGemmMultipleD_xdl_cshuffleIDF16_DF16_DF16_ffNS_5TupleIJDF16_EEEDF16_NS_16tensor_operation12element_wise11PassThroughES6_12AlphaBetaAddLi1ELi256ELi256ELi128ELi32ELi8ELi8ELi16ELi16ELi8ELi4ENS_8SequenceIJLi4ELi64ELi1EEEENS8_IJLi1ELi0ELi2EEEESA_Li2ELi8ELi8ELb0ELi1ES9_SA_SA_Li2ELi8ELi8ELb0ELi1ELi1ELi1ENS8_IJLi1ELi32ELi1ELi8EEEELi4ELNS_13LoopSchedulerE0ELNS_15PipelineVersionE0EDF16_Lb0EEEDF16_DF16_NS2_IJPKDF16_EEEDF16_S6_S6_S7_NS_16TensorDescriptorINS2_IJNS_5EmbedINS2_IJiiEEENS2_IJiNS_17integral_constantIiLi1EEEEEELb0EEENS_8RightPadIiiLb0EEESQ_NS_7UnMergeINS2_IJiNSL_IiLi8EEEEEELb0EEENS_11PassThroughIiEEEEENS2_IJNS8_IJLi0EEEENS8_IJLi1EEEENS8_IJLi2EEEENS8_IJLi4EEEENS8_IJLi3EEEEEEENS2_IJNS8_IJLi1ELi2EEEES12_S11_NS8_IJLi5ELi6EEEENS8_IJLi7EEEEEEENS8_IJLi5ELi7ELi6EEEElEES19_NS2_IJNSI_INS2_IJSO_SQ_SQ_NSR_INS2_IJiNSL_IiLi256EEEEEELb0EEENSR_INS2_IJiNSL_IiLi128EEEEEELb0EEEEEENS2_IJSY_SZ_S10_S12_S11_EEENS2_IJS14_S12_S11_S15_NS8_IJLi7ELi8EEEEEEENS8_IJLi5ELi6ELi7ELi8EEEElEEEEES1L_NS_31BlockToCTileMap_M00_N0_M01AdaptILi256ELi128ENSI_INS2_IJSO_SQ_SQ_EEENS2_IJSY_SZ_S10_EEENS2_IJS14_S12_S11_EEENS8_IJLi3ELi4EEEElEEiEELb0EEEvPKT0_PKT1_T2_PT3_T4_T5_T6_T7_T8_T9_T10_T11_.uses_flat_scratch, 0
	.set _ZN2ck35kernel_gemm_multiple_d_xdl_cshuffleINS_34GridwiseGemmMultipleD_xdl_cshuffleIDF16_DF16_DF16_ffNS_5TupleIJDF16_EEEDF16_NS_16tensor_operation12element_wise11PassThroughES6_12AlphaBetaAddLi1ELi256ELi256ELi128ELi32ELi8ELi8ELi16ELi16ELi8ELi4ENS_8SequenceIJLi4ELi64ELi1EEEENS8_IJLi1ELi0ELi2EEEESA_Li2ELi8ELi8ELb0ELi1ES9_SA_SA_Li2ELi8ELi8ELb0ELi1ELi1ELi1ENS8_IJLi1ELi32ELi1ELi8EEEELi4ELNS_13LoopSchedulerE0ELNS_15PipelineVersionE0EDF16_Lb0EEEDF16_DF16_NS2_IJPKDF16_EEEDF16_S6_S6_S7_NS_16TensorDescriptorINS2_IJNS_5EmbedINS2_IJiiEEENS2_IJiNS_17integral_constantIiLi1EEEEEELb0EEENS_8RightPadIiiLb0EEESQ_NS_7UnMergeINS2_IJiNSL_IiLi8EEEEEELb0EEENS_11PassThroughIiEEEEENS2_IJNS8_IJLi0EEEENS8_IJLi1EEEENS8_IJLi2EEEENS8_IJLi4EEEENS8_IJLi3EEEEEEENS2_IJNS8_IJLi1ELi2EEEES12_S11_NS8_IJLi5ELi6EEEENS8_IJLi7EEEEEEENS8_IJLi5ELi7ELi6EEEElEES19_NS2_IJNSI_INS2_IJSO_SQ_SQ_NSR_INS2_IJiNSL_IiLi256EEEEEELb0EEENSR_INS2_IJiNSL_IiLi128EEEEEELb0EEEEEENS2_IJSY_SZ_S10_S12_S11_EEENS2_IJS14_S12_S11_S15_NS8_IJLi7ELi8EEEEEEENS8_IJLi5ELi6ELi7ELi8EEEElEEEEES1L_NS_31BlockToCTileMap_M00_N0_M01AdaptILi256ELi128ENSI_INS2_IJSO_SQ_SQ_EEENS2_IJSY_SZ_S10_EEENS2_IJS14_S12_S11_EEENS8_IJLi3ELi4EEEElEEiEELb0EEEvPKT0_PKT1_T2_PT3_T4_T5_T6_T7_T8_T9_T10_T11_.has_dyn_sized_stack, 0
	.set _ZN2ck35kernel_gemm_multiple_d_xdl_cshuffleINS_34GridwiseGemmMultipleD_xdl_cshuffleIDF16_DF16_DF16_ffNS_5TupleIJDF16_EEEDF16_NS_16tensor_operation12element_wise11PassThroughES6_12AlphaBetaAddLi1ELi256ELi256ELi128ELi32ELi8ELi8ELi16ELi16ELi8ELi4ENS_8SequenceIJLi4ELi64ELi1EEEENS8_IJLi1ELi0ELi2EEEESA_Li2ELi8ELi8ELb0ELi1ES9_SA_SA_Li2ELi8ELi8ELb0ELi1ELi1ELi1ENS8_IJLi1ELi32ELi1ELi8EEEELi4ELNS_13LoopSchedulerE0ELNS_15PipelineVersionE0EDF16_Lb0EEEDF16_DF16_NS2_IJPKDF16_EEEDF16_S6_S6_S7_NS_16TensorDescriptorINS2_IJNS_5EmbedINS2_IJiiEEENS2_IJiNS_17integral_constantIiLi1EEEEEELb0EEENS_8RightPadIiiLb0EEESQ_NS_7UnMergeINS2_IJiNSL_IiLi8EEEEEELb0EEENS_11PassThroughIiEEEEENS2_IJNS8_IJLi0EEEENS8_IJLi1EEEENS8_IJLi2EEEENS8_IJLi4EEEENS8_IJLi3EEEEEEENS2_IJNS8_IJLi1ELi2EEEES12_S11_NS8_IJLi5ELi6EEEENS8_IJLi7EEEEEEENS8_IJLi5ELi7ELi6EEEElEES19_NS2_IJNSI_INS2_IJSO_SQ_SQ_NSR_INS2_IJiNSL_IiLi256EEEEEELb0EEENSR_INS2_IJiNSL_IiLi128EEEEEELb0EEEEEENS2_IJSY_SZ_S10_S12_S11_EEENS2_IJS14_S12_S11_S15_NS8_IJLi7ELi8EEEEEEENS8_IJLi5ELi6ELi7ELi8EEEElEEEEES1L_NS_31BlockToCTileMap_M00_N0_M01AdaptILi256ELi128ENSI_INS2_IJSO_SQ_SQ_EEENS2_IJSY_SZ_S10_EEENS2_IJS14_S12_S11_EEENS8_IJLi3ELi4EEEElEEiEELb0EEEvPKT0_PKT1_T2_PT3_T4_T5_T6_T7_T8_T9_T10_T11_.has_recursion, 0
	.set _ZN2ck35kernel_gemm_multiple_d_xdl_cshuffleINS_34GridwiseGemmMultipleD_xdl_cshuffleIDF16_DF16_DF16_ffNS_5TupleIJDF16_EEEDF16_NS_16tensor_operation12element_wise11PassThroughES6_12AlphaBetaAddLi1ELi256ELi256ELi128ELi32ELi8ELi8ELi16ELi16ELi8ELi4ENS_8SequenceIJLi4ELi64ELi1EEEENS8_IJLi1ELi0ELi2EEEESA_Li2ELi8ELi8ELb0ELi1ES9_SA_SA_Li2ELi8ELi8ELb0ELi1ELi1ELi1ENS8_IJLi1ELi32ELi1ELi8EEEELi4ELNS_13LoopSchedulerE0ELNS_15PipelineVersionE0EDF16_Lb0EEEDF16_DF16_NS2_IJPKDF16_EEEDF16_S6_S6_S7_NS_16TensorDescriptorINS2_IJNS_5EmbedINS2_IJiiEEENS2_IJiNS_17integral_constantIiLi1EEEEEELb0EEENS_8RightPadIiiLb0EEESQ_NS_7UnMergeINS2_IJiNSL_IiLi8EEEEEELb0EEENS_11PassThroughIiEEEEENS2_IJNS8_IJLi0EEEENS8_IJLi1EEEENS8_IJLi2EEEENS8_IJLi4EEEENS8_IJLi3EEEEEEENS2_IJNS8_IJLi1ELi2EEEES12_S11_NS8_IJLi5ELi6EEEENS8_IJLi7EEEEEEENS8_IJLi5ELi7ELi6EEEElEES19_NS2_IJNSI_INS2_IJSO_SQ_SQ_NSR_INS2_IJiNSL_IiLi256EEEEEELb0EEENSR_INS2_IJiNSL_IiLi128EEEEEELb0EEEEEENS2_IJSY_SZ_S10_S12_S11_EEENS2_IJS14_S12_S11_S15_NS8_IJLi7ELi8EEEEEEENS8_IJLi5ELi6ELi7ELi8EEEElEEEEES1L_NS_31BlockToCTileMap_M00_N0_M01AdaptILi256ELi128ENSI_INS2_IJSO_SQ_SQ_EEENS2_IJSY_SZ_S10_EEENS2_IJS14_S12_S11_EEENS8_IJLi3ELi4EEEElEEiEELb0EEEvPKT0_PKT1_T2_PT3_T4_T5_T6_T7_T8_T9_T10_T11_.has_indirect_call, 0
	.section	.AMDGPU.csdata,"",@progbits
; Kernel info:
; codeLenInByte = 4
; TotalNumSgprs: 0
; NumVgprs: 0
; ScratchSize: 0
; MemoryBound: 0
; FloatMode: 240
; IeeeMode: 1
; LDSByteSize: 0 bytes/workgroup (compile time only)
; SGPRBlocks: 0
; VGPRBlocks: 0
; NumSGPRsForWavesPerEU: 1
; NumVGPRsForWavesPerEU: 1
; Occupancy: 16
; WaveLimiterHint : 0
; COMPUTE_PGM_RSRC2:SCRATCH_EN: 0
; COMPUTE_PGM_RSRC2:USER_SGPR: 2
; COMPUTE_PGM_RSRC2:TRAP_HANDLER: 0
; COMPUTE_PGM_RSRC2:TGID_X_EN: 1
; COMPUTE_PGM_RSRC2:TGID_Y_EN: 0
; COMPUTE_PGM_RSRC2:TGID_Z_EN: 0
; COMPUTE_PGM_RSRC2:TIDIG_COMP_CNT: 0
	.section	.text._ZN2ck35kernel_gemm_multiple_d_xdl_cshuffleINS_34GridwiseGemmMultipleD_xdl_cshuffleIDF16_DF16_DF16_ffNS_5TupleIJDF16_EEEDF16_NS_16tensor_operation12element_wise11PassThroughES6_12AlphaBetaAddLi1ELi256ELi256ELi128ELi32ELi8ELi8ELi16ELi16ELi8ELi2ENS_8SequenceIJLi4ELi64ELi1EEEENS8_IJLi1ELi0ELi2EEEESA_Li2ELi8ELi8ELb0ELi1ES9_SA_SA_Li2ELi8ELi8ELb0ELi1ELi1ELi1ENS8_IJLi1ELi32ELi1ELi8EEEELi4ELNS_13LoopSchedulerE0ELNS_15PipelineVersionE0EDF16_Lb0EEEDF16_DF16_NS2_IJPKDF16_EEEDF16_S6_S6_S7_NS_16TensorDescriptorINS2_IJNS_5EmbedINS2_IJiiEEENS2_IJiNS_17integral_constantIiLi1EEEEEELb0EEENS_8RightPadIiiLb0EEESQ_NS_7UnMergeINS2_IJiNSL_IiLi8EEEEEELb0EEENS_11PassThroughIiEEEEENS2_IJNS8_IJLi0EEEENS8_IJLi1EEEENS8_IJLi2EEEENS8_IJLi4EEEENS8_IJLi3EEEEEEENS2_IJNS8_IJLi1ELi2EEEES12_S11_NS8_IJLi5ELi6EEEENS8_IJLi7EEEEEEENS8_IJLi5ELi7ELi6EEEElEES19_NS2_IJNSI_INS2_IJSO_SQ_SQ_NSR_INS2_IJiNSL_IiLi256EEEEEELb0EEENSR_INS2_IJiNSL_IiLi128EEEEEELb0EEEEEENS2_IJSY_SZ_S10_S12_S11_EEENS2_IJS14_S12_S11_S15_NS8_IJLi7ELi8EEEEEEENS8_IJLi5ELi6ELi7ELi8EEEElEEEEES1L_NS_31BlockToCTileMap_M00_N0_M01AdaptILi256ELi128ENSI_INS2_IJSO_SQ_SQ_EEENS2_IJSY_SZ_S10_EEENS2_IJS14_S12_S11_EEENS8_IJLi3ELi4EEEElEEiEELb1EEEvPKT0_PKT1_T2_PT3_T4_T5_T6_T7_T8_T9_T10_T11_,"axG",@progbits,_ZN2ck35kernel_gemm_multiple_d_xdl_cshuffleINS_34GridwiseGemmMultipleD_xdl_cshuffleIDF16_DF16_DF16_ffNS_5TupleIJDF16_EEEDF16_NS_16tensor_operation12element_wise11PassThroughES6_12AlphaBetaAddLi1ELi256ELi256ELi128ELi32ELi8ELi8ELi16ELi16ELi8ELi2ENS_8SequenceIJLi4ELi64ELi1EEEENS8_IJLi1ELi0ELi2EEEESA_Li2ELi8ELi8ELb0ELi1ES9_SA_SA_Li2ELi8ELi8ELb0ELi1ELi1ELi1ENS8_IJLi1ELi32ELi1ELi8EEEELi4ELNS_13LoopSchedulerE0ELNS_15PipelineVersionE0EDF16_Lb0EEEDF16_DF16_NS2_IJPKDF16_EEEDF16_S6_S6_S7_NS_16TensorDescriptorINS2_IJNS_5EmbedINS2_IJiiEEENS2_IJiNS_17integral_constantIiLi1EEEEEELb0EEENS_8RightPadIiiLb0EEESQ_NS_7UnMergeINS2_IJiNSL_IiLi8EEEEEELb0EEENS_11PassThroughIiEEEEENS2_IJNS8_IJLi0EEEENS8_IJLi1EEEENS8_IJLi2EEEENS8_IJLi4EEEENS8_IJLi3EEEEEEENS2_IJNS8_IJLi1ELi2EEEES12_S11_NS8_IJLi5ELi6EEEENS8_IJLi7EEEEEEENS8_IJLi5ELi7ELi6EEEElEES19_NS2_IJNSI_INS2_IJSO_SQ_SQ_NSR_INS2_IJiNSL_IiLi256EEEEEELb0EEENSR_INS2_IJiNSL_IiLi128EEEEEELb0EEEEEENS2_IJSY_SZ_S10_S12_S11_EEENS2_IJS14_S12_S11_S15_NS8_IJLi7ELi8EEEEEEENS8_IJLi5ELi6ELi7ELi8EEEElEEEEES1L_NS_31BlockToCTileMap_M00_N0_M01AdaptILi256ELi128ENSI_INS2_IJSO_SQ_SQ_EEENS2_IJSY_SZ_S10_EEENS2_IJS14_S12_S11_EEENS8_IJLi3ELi4EEEElEEiEELb1EEEvPKT0_PKT1_T2_PT3_T4_T5_T6_T7_T8_T9_T10_T11_,comdat
	.protected	_ZN2ck35kernel_gemm_multiple_d_xdl_cshuffleINS_34GridwiseGemmMultipleD_xdl_cshuffleIDF16_DF16_DF16_ffNS_5TupleIJDF16_EEEDF16_NS_16tensor_operation12element_wise11PassThroughES6_12AlphaBetaAddLi1ELi256ELi256ELi128ELi32ELi8ELi8ELi16ELi16ELi8ELi2ENS_8SequenceIJLi4ELi64ELi1EEEENS8_IJLi1ELi0ELi2EEEESA_Li2ELi8ELi8ELb0ELi1ES9_SA_SA_Li2ELi8ELi8ELb0ELi1ELi1ELi1ENS8_IJLi1ELi32ELi1ELi8EEEELi4ELNS_13LoopSchedulerE0ELNS_15PipelineVersionE0EDF16_Lb0EEEDF16_DF16_NS2_IJPKDF16_EEEDF16_S6_S6_S7_NS_16TensorDescriptorINS2_IJNS_5EmbedINS2_IJiiEEENS2_IJiNS_17integral_constantIiLi1EEEEEELb0EEENS_8RightPadIiiLb0EEESQ_NS_7UnMergeINS2_IJiNSL_IiLi8EEEEEELb0EEENS_11PassThroughIiEEEEENS2_IJNS8_IJLi0EEEENS8_IJLi1EEEENS8_IJLi2EEEENS8_IJLi4EEEENS8_IJLi3EEEEEEENS2_IJNS8_IJLi1ELi2EEEES12_S11_NS8_IJLi5ELi6EEEENS8_IJLi7EEEEEEENS8_IJLi5ELi7ELi6EEEElEES19_NS2_IJNSI_INS2_IJSO_SQ_SQ_NSR_INS2_IJiNSL_IiLi256EEEEEELb0EEENSR_INS2_IJiNSL_IiLi128EEEEEELb0EEEEEENS2_IJSY_SZ_S10_S12_S11_EEENS2_IJS14_S12_S11_S15_NS8_IJLi7ELi8EEEEEEENS8_IJLi5ELi6ELi7ELi8EEEElEEEEES1L_NS_31BlockToCTileMap_M00_N0_M01AdaptILi256ELi128ENSI_INS2_IJSO_SQ_SQ_EEENS2_IJSY_SZ_S10_EEENS2_IJS14_S12_S11_EEENS8_IJLi3ELi4EEEElEEiEELb1EEEvPKT0_PKT1_T2_PT3_T4_T5_T6_T7_T8_T9_T10_T11_ ; -- Begin function _ZN2ck35kernel_gemm_multiple_d_xdl_cshuffleINS_34GridwiseGemmMultipleD_xdl_cshuffleIDF16_DF16_DF16_ffNS_5TupleIJDF16_EEEDF16_NS_16tensor_operation12element_wise11PassThroughES6_12AlphaBetaAddLi1ELi256ELi256ELi128ELi32ELi8ELi8ELi16ELi16ELi8ELi2ENS_8SequenceIJLi4ELi64ELi1EEEENS8_IJLi1ELi0ELi2EEEESA_Li2ELi8ELi8ELb0ELi1ES9_SA_SA_Li2ELi8ELi8ELb0ELi1ELi1ELi1ENS8_IJLi1ELi32ELi1ELi8EEEELi4ELNS_13LoopSchedulerE0ELNS_15PipelineVersionE0EDF16_Lb0EEEDF16_DF16_NS2_IJPKDF16_EEEDF16_S6_S6_S7_NS_16TensorDescriptorINS2_IJNS_5EmbedINS2_IJiiEEENS2_IJiNS_17integral_constantIiLi1EEEEEELb0EEENS_8RightPadIiiLb0EEESQ_NS_7UnMergeINS2_IJiNSL_IiLi8EEEEEELb0EEENS_11PassThroughIiEEEEENS2_IJNS8_IJLi0EEEENS8_IJLi1EEEENS8_IJLi2EEEENS8_IJLi4EEEENS8_IJLi3EEEEEEENS2_IJNS8_IJLi1ELi2EEEES12_S11_NS8_IJLi5ELi6EEEENS8_IJLi7EEEEEEENS8_IJLi5ELi7ELi6EEEElEES19_NS2_IJNSI_INS2_IJSO_SQ_SQ_NSR_INS2_IJiNSL_IiLi256EEEEEELb0EEENSR_INS2_IJiNSL_IiLi128EEEEEELb0EEEEEENS2_IJSY_SZ_S10_S12_S11_EEENS2_IJS14_S12_S11_S15_NS8_IJLi7ELi8EEEEEEENS8_IJLi5ELi6ELi7ELi8EEEElEEEEES1L_NS_31BlockToCTileMap_M00_N0_M01AdaptILi256ELi128ENSI_INS2_IJSO_SQ_SQ_EEENS2_IJSY_SZ_S10_EEENS2_IJS14_S12_S11_EEENS8_IJLi3ELi4EEEElEEiEELb1EEEvPKT0_PKT1_T2_PT3_T4_T5_T6_T7_T8_T9_T10_T11_
	.globl	_ZN2ck35kernel_gemm_multiple_d_xdl_cshuffleINS_34GridwiseGemmMultipleD_xdl_cshuffleIDF16_DF16_DF16_ffNS_5TupleIJDF16_EEEDF16_NS_16tensor_operation12element_wise11PassThroughES6_12AlphaBetaAddLi1ELi256ELi256ELi128ELi32ELi8ELi8ELi16ELi16ELi8ELi2ENS_8SequenceIJLi4ELi64ELi1EEEENS8_IJLi1ELi0ELi2EEEESA_Li2ELi8ELi8ELb0ELi1ES9_SA_SA_Li2ELi8ELi8ELb0ELi1ELi1ELi1ENS8_IJLi1ELi32ELi1ELi8EEEELi4ELNS_13LoopSchedulerE0ELNS_15PipelineVersionE0EDF16_Lb0EEEDF16_DF16_NS2_IJPKDF16_EEEDF16_S6_S6_S7_NS_16TensorDescriptorINS2_IJNS_5EmbedINS2_IJiiEEENS2_IJiNS_17integral_constantIiLi1EEEEEELb0EEENS_8RightPadIiiLb0EEESQ_NS_7UnMergeINS2_IJiNSL_IiLi8EEEEEELb0EEENS_11PassThroughIiEEEEENS2_IJNS8_IJLi0EEEENS8_IJLi1EEEENS8_IJLi2EEEENS8_IJLi4EEEENS8_IJLi3EEEEEEENS2_IJNS8_IJLi1ELi2EEEES12_S11_NS8_IJLi5ELi6EEEENS8_IJLi7EEEEEEENS8_IJLi5ELi7ELi6EEEElEES19_NS2_IJNSI_INS2_IJSO_SQ_SQ_NSR_INS2_IJiNSL_IiLi256EEEEEELb0EEENSR_INS2_IJiNSL_IiLi128EEEEEELb0EEEEEENS2_IJSY_SZ_S10_S12_S11_EEENS2_IJS14_S12_S11_S15_NS8_IJLi7ELi8EEEEEEENS8_IJLi5ELi6ELi7ELi8EEEElEEEEES1L_NS_31BlockToCTileMap_M00_N0_M01AdaptILi256ELi128ENSI_INS2_IJSO_SQ_SQ_EEENS2_IJSY_SZ_S10_EEENS2_IJS14_S12_S11_EEENS8_IJLi3ELi4EEEElEEiEELb1EEEvPKT0_PKT1_T2_PT3_T4_T5_T6_T7_T8_T9_T10_T11_
	.p2align	8
	.type	_ZN2ck35kernel_gemm_multiple_d_xdl_cshuffleINS_34GridwiseGemmMultipleD_xdl_cshuffleIDF16_DF16_DF16_ffNS_5TupleIJDF16_EEEDF16_NS_16tensor_operation12element_wise11PassThroughES6_12AlphaBetaAddLi1ELi256ELi256ELi128ELi32ELi8ELi8ELi16ELi16ELi8ELi2ENS_8SequenceIJLi4ELi64ELi1EEEENS8_IJLi1ELi0ELi2EEEESA_Li2ELi8ELi8ELb0ELi1ES9_SA_SA_Li2ELi8ELi8ELb0ELi1ELi1ELi1ENS8_IJLi1ELi32ELi1ELi8EEEELi4ELNS_13LoopSchedulerE0ELNS_15PipelineVersionE0EDF16_Lb0EEEDF16_DF16_NS2_IJPKDF16_EEEDF16_S6_S6_S7_NS_16TensorDescriptorINS2_IJNS_5EmbedINS2_IJiiEEENS2_IJiNS_17integral_constantIiLi1EEEEEELb0EEENS_8RightPadIiiLb0EEESQ_NS_7UnMergeINS2_IJiNSL_IiLi8EEEEEELb0EEENS_11PassThroughIiEEEEENS2_IJNS8_IJLi0EEEENS8_IJLi1EEEENS8_IJLi2EEEENS8_IJLi4EEEENS8_IJLi3EEEEEEENS2_IJNS8_IJLi1ELi2EEEES12_S11_NS8_IJLi5ELi6EEEENS8_IJLi7EEEEEEENS8_IJLi5ELi7ELi6EEEElEES19_NS2_IJNSI_INS2_IJSO_SQ_SQ_NSR_INS2_IJiNSL_IiLi256EEEEEELb0EEENSR_INS2_IJiNSL_IiLi128EEEEEELb0EEEEEENS2_IJSY_SZ_S10_S12_S11_EEENS2_IJS14_S12_S11_S15_NS8_IJLi7ELi8EEEEEEENS8_IJLi5ELi6ELi7ELi8EEEElEEEEES1L_NS_31BlockToCTileMap_M00_N0_M01AdaptILi256ELi128ENSI_INS2_IJSO_SQ_SQ_EEENS2_IJSY_SZ_S10_EEENS2_IJS14_S12_S11_EEENS8_IJLi3ELi4EEEElEEiEELb1EEEvPKT0_PKT1_T2_PT3_T4_T5_T6_T7_T8_T9_T10_T11_,@function
_ZN2ck35kernel_gemm_multiple_d_xdl_cshuffleINS_34GridwiseGemmMultipleD_xdl_cshuffleIDF16_DF16_DF16_ffNS_5TupleIJDF16_EEEDF16_NS_16tensor_operation12element_wise11PassThroughES6_12AlphaBetaAddLi1ELi256ELi256ELi128ELi32ELi8ELi8ELi16ELi16ELi8ELi2ENS_8SequenceIJLi4ELi64ELi1EEEENS8_IJLi1ELi0ELi2EEEESA_Li2ELi8ELi8ELb0ELi1ES9_SA_SA_Li2ELi8ELi8ELb0ELi1ELi1ELi1ENS8_IJLi1ELi32ELi1ELi8EEEELi4ELNS_13LoopSchedulerE0ELNS_15PipelineVersionE0EDF16_Lb0EEEDF16_DF16_NS2_IJPKDF16_EEEDF16_S6_S6_S7_NS_16TensorDescriptorINS2_IJNS_5EmbedINS2_IJiiEEENS2_IJiNS_17integral_constantIiLi1EEEEEELb0EEENS_8RightPadIiiLb0EEESQ_NS_7UnMergeINS2_IJiNSL_IiLi8EEEEEELb0EEENS_11PassThroughIiEEEEENS2_IJNS8_IJLi0EEEENS8_IJLi1EEEENS8_IJLi2EEEENS8_IJLi4EEEENS8_IJLi3EEEEEEENS2_IJNS8_IJLi1ELi2EEEES12_S11_NS8_IJLi5ELi6EEEENS8_IJLi7EEEEEEENS8_IJLi5ELi7ELi6EEEElEES19_NS2_IJNSI_INS2_IJSO_SQ_SQ_NSR_INS2_IJiNSL_IiLi256EEEEEELb0EEENSR_INS2_IJiNSL_IiLi128EEEEEELb0EEEEEENS2_IJSY_SZ_S10_S12_S11_EEENS2_IJS14_S12_S11_S15_NS8_IJLi7ELi8EEEEEEENS8_IJLi5ELi6ELi7ELi8EEEElEEEEES1L_NS_31BlockToCTileMap_M00_N0_M01AdaptILi256ELi128ENSI_INS2_IJSO_SQ_SQ_EEENS2_IJSY_SZ_S10_EEENS2_IJS14_S12_S11_EEENS8_IJLi3ELi4EEEElEEiEELb1EEEvPKT0_PKT1_T2_PT3_T4_T5_T6_T7_T8_T9_T10_T11_: ; @_ZN2ck35kernel_gemm_multiple_d_xdl_cshuffleINS_34GridwiseGemmMultipleD_xdl_cshuffleIDF16_DF16_DF16_ffNS_5TupleIJDF16_EEEDF16_NS_16tensor_operation12element_wise11PassThroughES6_12AlphaBetaAddLi1ELi256ELi256ELi128ELi32ELi8ELi8ELi16ELi16ELi8ELi2ENS_8SequenceIJLi4ELi64ELi1EEEENS8_IJLi1ELi0ELi2EEEESA_Li2ELi8ELi8ELb0ELi1ES9_SA_SA_Li2ELi8ELi8ELb0ELi1ELi1ELi1ENS8_IJLi1ELi32ELi1ELi8EEEELi4ELNS_13LoopSchedulerE0ELNS_15PipelineVersionE0EDF16_Lb0EEEDF16_DF16_NS2_IJPKDF16_EEEDF16_S6_S6_S7_NS_16TensorDescriptorINS2_IJNS_5EmbedINS2_IJiiEEENS2_IJiNS_17integral_constantIiLi1EEEEEELb0EEENS_8RightPadIiiLb0EEESQ_NS_7UnMergeINS2_IJiNSL_IiLi8EEEEEELb0EEENS_11PassThroughIiEEEEENS2_IJNS8_IJLi0EEEENS8_IJLi1EEEENS8_IJLi2EEEENS8_IJLi4EEEENS8_IJLi3EEEEEEENS2_IJNS8_IJLi1ELi2EEEES12_S11_NS8_IJLi5ELi6EEEENS8_IJLi7EEEEEEENS8_IJLi5ELi7ELi6EEEElEES19_NS2_IJNSI_INS2_IJSO_SQ_SQ_NSR_INS2_IJiNSL_IiLi256EEEEEELb0EEENSR_INS2_IJiNSL_IiLi128EEEEEELb0EEEEEENS2_IJSY_SZ_S10_S12_S11_EEENS2_IJS14_S12_S11_S15_NS8_IJLi7ELi8EEEEEEENS8_IJLi5ELi6ELi7ELi8EEEElEEEEES1L_NS_31BlockToCTileMap_M00_N0_M01AdaptILi256ELi128ENSI_INS2_IJSO_SQ_SQ_EEENS2_IJSY_SZ_S10_EEENS2_IJS14_S12_S11_EEENS8_IJLi3ELi4EEEElEEiEELb1EEEvPKT0_PKT1_T2_PT3_T4_T5_T6_T7_T8_T9_T10_T11_
; %bb.0:
	s_load_b96 s[4:6], s[0:1], 0x160
	s_abs_i32 s9, ttmp9
	v_dual_mov_b32 v8, 0 :: v_dual_and_b32 v131, 0xfc, v0
	v_and_b32_e32 v130, 3, v0
	v_lshrrev_b32_e32 v128, 1, v0
	s_mov_b32 s27, 0x31004000
	v_and_b32_e32 v133, 15, v0
	v_mov_b32_e32 v9, v8
	v_dual_mov_b32 v10, v8 :: v_dual_lshlrev_b32 v139, 3, v130
	v_dual_mov_b32 v11, v8 :: v_dual_and_b32 v136, 0x7e, v128
	v_lshrrev_b32_e32 v132, 3, v0
	v_dual_mov_b32 v6, v8 :: v_dual_and_b32 v137, 0x80, v0
	v_dual_mov_b32 v16, v8 :: v_dual_lshlrev_b32 v129, 3, v0
	s_delay_alu instid0(VALU_DEP_3)
	v_and_b32_e32 v143, 2, v132
	v_mul_u32_u24_e32 v168, 0x1010, v130
	s_wait_kmcnt 0x0
	s_add_co_i32 s2, s4, 0xff
	s_add_co_i32 s3, s5, 0x7f
	s_ashr_i32 s4, s2, 31
	s_ashr_i32 s5, s3, 31
	s_lshr_b32 s4, s4, 24
	s_lshr_b32 s5, s5, 25
	s_add_co_i32 s2, s2, s4
	s_add_co_i32 s3, s3, s5
	s_ashr_i32 s4, s2, 8
	s_ashr_i32 s3, s3, 7
	v_or_b32_e32 v135, 32, v139
	s_mul_i32 s5, s3, s4
	v_mul_u32_u24_e32 v172, 0x1010, v143
	s_abs_i32 s5, s5
	v_mul_u32_u24_e32 v143, 0x810, v143
	s_cvt_f32_u32 s7, s5
	s_sub_co_i32 s8, 0, s5
	v_mul_u32_u24_e32 v170, 0x810, v130
	v_lshlrev_b32_e32 v171, 4, v136
	v_rcp_iflag_f32_e32 v1, s7
	v_dual_mov_b32 v121, v8 :: v_dual_lshlrev_b32 v134, 4, v130
	v_dual_mov_b32 v5, v8 :: v_dual_mov_b32 v20, v8
	v_dual_mov_b32 v7, v8 :: v_dual_mov_b32 v22, v8
	;; [unrolled: 1-line block ×4, first 2 shown]
	s_delay_alu instid0(TRANS32_DEP_1)
	v_readfirstlane_b32 s7, v1
	v_dual_mov_b32 v21, v8 :: v_dual_mov_b32 v28, v8
	v_dual_mov_b32 v23, v8 :: v_dual_mov_b32 v30, v8
	s_mul_f32 s7, s7, 0x4f7ffffe
	v_dual_mov_b32 v25, v8 :: v_dual_mov_b32 v40, v8
	v_dual_mov_b32 v27, v8 :: v_dual_mov_b32 v42, v8
	s_wait_alu 0xfffe
	s_cvt_u32_f32 s7, s7
	v_dual_mov_b32 v29, v8 :: v_dual_mov_b32 v44, v8
	v_dual_mov_b32 v31, v8 :: v_dual_mov_b32 v46, v8
	s_wait_alu 0xfffe
	s_mul_i32 s8, s8, s7
	v_dual_mov_b32 v41, v8 :: v_dual_mov_b32 v32, v8
	s_mul_hi_u32 s8, s7, s8
	v_dual_mov_b32 v43, v8 :: v_dual_mov_b32 v34, v8
	s_add_co_i32 s7, s7, s8
	s_ashr_i32 s8, ttmp9, 31
	s_wait_alu 0xfffe
	s_mul_hi_u32 s7, s9, s7
	v_dual_mov_b32 v45, v8 :: v_dual_mov_b32 v36, v8
	s_wait_alu 0xfffe
	s_mul_i32 s7, s7, s5
	v_dual_mov_b32 v47, v8 :: v_dual_mov_b32 v38, v8
	s_wait_alu 0xfffe
	s_sub_co_i32 s7, s9, s7
	v_dual_mov_b32 v33, v8 :: v_dual_mov_b32 v48, v8
	s_wait_alu 0xfffe
	s_sub_co_i32 s9, s7, s5
	s_cmp_ge_u32 s7, s5
	v_dual_mov_b32 v35, v8 :: v_dual_mov_b32 v50, v8
	s_cselect_b32 s7, s9, s7
	v_dual_mov_b32 v37, v8 :: v_dual_mov_b32 v52, v8
	s_wait_alu 0xfffe
	s_sub_co_i32 s9, s7, s5
	s_cmp_ge_u32 s7, s5
	v_dual_mov_b32 v39, v8 :: v_dual_mov_b32 v54, v8
	s_cselect_b32 s5, s9, s7
	s_abs_i32 s7, s3
	s_xor_b32 s5, s5, s8
	s_wait_alu 0xfffe
	s_cvt_f32_u32 s9, s7
	s_sub_co_i32 s10, 0, s7
	s_sub_co_i32 s5, s5, s8
	v_dual_mov_b32 v49, v8 :: v_dual_mov_b32 v56, v8
	v_rcp_iflag_f32_e32 v1, s9
	v_dual_mov_b32 v51, v8 :: v_dual_mov_b32 v58, v8
	v_dual_mov_b32 v53, v8 :: v_dual_mov_b32 v60, v8
	;; [unrolled: 1-line block ×5, first 2 shown]
	s_delay_alu instid0(TRANS32_DEP_1)
	v_readfirstlane_b32 s9, v1
	v_dual_mov_b32 v61, v8 :: v_dual_mov_b32 v76, v8
	v_dual_mov_b32 v63, v8 :: v_dual_mov_b32 v78, v8
	s_mul_f32 s9, s9, 0x4f7ffffe
	v_dual_mov_b32 v73, v8 :: v_dual_mov_b32 v64, v8
	v_dual_mov_b32 v75, v8 :: v_dual_mov_b32 v66, v8
	s_wait_alu 0xfffe
	s_cvt_u32_f32 s9, s9
	v_dual_mov_b32 v77, v8 :: v_dual_mov_b32 v68, v8
	v_dual_mov_b32 v79, v8 :: v_dual_mov_b32 v70, v8
	s_wait_alu 0xfffe
	s_mul_i32 s10, s10, s9
	v_dual_mov_b32 v65, v8 :: v_dual_mov_b32 v80, v8
	s_mul_hi_u32 s8, s9, s10
	s_abs_i32 s10, s5
	s_wait_alu 0xfffe
	s_add_co_i32 s9, s9, s8
	v_dual_mov_b32 v67, v8 :: v_dual_mov_b32 v82, v8
	s_wait_alu 0xfffe
	s_mul_hi_u32 s8, s10, s9
	s_xor_b32 s9, s5, s3
	s_wait_alu 0xfffe
	s_mul_i32 s11, s8, s7
	s_ashr_i32 s9, s9, 31
	s_sub_co_i32 s10, s10, s11
	s_add_co_i32 s11, s8, 1
	s_sub_co_i32 s12, s10, s7
	s_cmp_ge_u32 s10, s7
	v_dual_mov_b32 v69, v8 :: v_dual_mov_b32 v84, v8
	s_cselect_b32 s8, s11, s8
	s_cselect_b32 s10, s12, s10
	s_wait_alu 0xfffe
	s_add_co_i32 s11, s8, 1
	s_cmp_ge_u32 s10, s7
	v_dual_mov_b32 v71, v8 :: v_dual_mov_b32 v86, v8
	s_cselect_b32 s7, s11, s8
	s_abs_i32 s8, s6
	s_abs_i32 s12, s4
	s_wait_alu 0xfffe
	s_cvt_f32_u32 s10, s8
	s_sub_co_i32 s11, 0, s8
	s_xor_b32 s7, s7, s9
	s_ashr_i32 s2, s2, 31
	v_rcp_iflag_f32_e32 v1, s10
	s_wait_alu 0xfffe
	s_sub_co_i32 s7, s7, s9
	v_dual_mov_b32 v81, v8 :: v_dual_mov_b32 v88, v8
	v_dual_mov_b32 v83, v8 :: v_dual_mov_b32 v90, v8
	;; [unrolled: 1-line block ×4, first 2 shown]
	s_delay_alu instid0(TRANS32_DEP_1)
	v_readfirstlane_b32 s10, v1
	v_dual_mov_b32 v89, v8 :: v_dual_mov_b32 v104, v8
	v_dual_mov_b32 v91, v8 :: v_dual_mov_b32 v106, v8
	s_mul_f32 s10, s10, 0x4f7ffffe
	v_dual_mov_b32 v93, v8 :: v_dual_mov_b32 v108, v8
	v_dual_mov_b32 v95, v8 :: v_dual_mov_b32 v110, v8
	s_wait_alu 0xfffe
	s_cvt_u32_f32 s10, s10
	v_dual_mov_b32 v105, v8 :: v_dual_mov_b32 v96, v8
	v_dual_mov_b32 v107, v8 :: v_dual_mov_b32 v98, v8
	s_wait_alu 0xfffe
	s_mul_i32 s11, s11, s10
	v_dual_mov_b32 v109, v8 :: v_dual_mov_b32 v100, v8
	s_wait_alu 0xfffe
	s_mul_hi_u32 s11, s10, s11
	v_dual_mov_b32 v111, v8 :: v_dual_mov_b32 v102, v8
	s_wait_alu 0xfffe
	s_add_co_i32 s10, s10, s11
	v_dual_mov_b32 v97, v8 :: v_dual_mov_b32 v112, v8
	s_wait_alu 0xfffe
	s_mul_hi_u32 s11, s12, s10
	v_dual_mov_b32 v99, v8 :: v_dual_mov_b32 v114, v8
	s_wait_alu 0xfffe
	s_mul_i32 s11, s11, s8
	v_dual_mov_b32 v101, v8 :: v_dual_mov_b32 v116, v8
	s_wait_alu 0xfffe
	s_sub_co_i32 s11, s12, s11
	v_dual_mov_b32 v103, v8 :: v_dual_mov_b32 v118, v8
	s_wait_alu 0xfffe
	s_sub_co_i32 s9, s11, s8
	s_cmp_ge_u32 s11, s8
	v_dual_mov_b32 v113, v8 :: v_dual_mov_b32 v120, v8
	s_wait_alu 0xfffe
	s_cselect_b32 s9, s9, s11
	v_dual_mov_b32 v115, v8 :: v_dual_mov_b32 v122, v8
	s_wait_alu 0xfffe
	s_sub_co_i32 s11, s9, s8
	s_cmp_ge_u32 s9, s8
	v_dual_mov_b32 v117, v8 :: v_dual_mov_b32 v124, v8
	s_wait_alu 0xfffe
	s_cselect_b32 s9, s11, s9
	v_dual_mov_b32 v119, v8 :: v_dual_mov_b32 v126, v8
	s_wait_alu 0xfffe
	s_xor_b32 s9, s9, s2
	v_mov_b32_e32 v127, v8
	s_wait_alu 0xfffe
	s_sub_co_i32 s2, s9, s2
	s_mul_i32 s9, s7, s3
	s_sub_co_i32 s4, s4, s2
	s_mov_b32 s23, s27
	s_cmp_lt_i32 s7, s4
	s_load_b32 s12, s[0:1], 0xb8
	s_cselect_b32 s2, s6, s2
	s_abs_i32 s4, s7
	s_sub_co_i32 s5, s5, s9
	s_mul_hi_u32 s6, s4, s10
	s_load_b64 s[16:17], s[0:1], 0x18
	s_mul_i32 s6, s6, s8
	v_mov_b32_e32 v13, v8
	s_wait_alu 0xfffe
	s_sub_co_i32 s4, s4, s6
	s_ashr_i32 s6, s7, 31
	s_sub_co_i32 s9, s4, s8
	s_cmp_ge_u32 s4, s8
	v_mov_b32_e32 v12, v8
	s_wait_alu 0xfffe
	s_cselect_b32 s4, s9, s4
	v_mov_b32_e32 v14, v8
	s_sub_co_i32 s9, s4, s8
	s_cmp_ge_u32 s4, s8
	v_mov_b32_e32 v15, v8
	s_wait_alu 0xfffe
	s_cselect_b32 s4, s9, s4
	s_abs_i32 s8, s2
	s_xor_b32 s4, s4, s6
	s_wait_alu 0xfffe
	s_cvt_f32_u32 s9, s8
	s_sub_co_i32 s4, s4, s6
	s_sub_co_i32 s6, 0, s8
	s_mul_i32 s3, s4, s3
	s_wait_alu 0xfffe
	v_rcp_iflag_f32_e32 v1, s9
	s_add_co_i32 s3, s3, s5
	v_mov_b32_e32 v0, v8
	v_mov_b32_e32 v18, v8
	s_delay_alu instid0(TRANS32_DEP_1) | instskip(SKIP_2) | instid1(SALU_CYCLE_2)
	v_readfirstlane_b32 s9, v1
	s_mul_f32 s9, s9, 0x4f7ffffe
	s_wait_alu 0xfffe
	s_cvt_u32_f32 s9, s9
	s_wait_alu 0xfffe
	s_delay_alu instid0(SALU_CYCLE_2)
	s_mul_i32 s6, s6, s9
	s_wait_alu 0xfffe
	s_mul_hi_u32 s5, s9, s6
	s_abs_i32 s6, s3
	s_add_co_i32 s9, s9, s5
	s_wait_alu 0xfffe
	s_mul_hi_u32 s5, s6, s9
	s_xor_b32 s9, s3, s2
	s_mul_i32 s10, s5, s8
	s_wait_alu 0xfffe
	s_ashr_i32 s11, s9, 31
	s_sub_co_i32 s6, s6, s10
	s_add_co_i32 s9, s5, 1
	s_wait_alu 0xfffe
	s_sub_co_i32 s10, s6, s8
	s_cmp_ge_u32 s6, s8
	s_cselect_b32 s5, s9, s5
	s_wait_alu 0xfffe
	s_cselect_b32 s6, s10, s6
	s_add_co_i32 s10, s5, 1
	s_load_b32 s9, s[0:1], 0x38
	s_cmp_ge_u32 s6, s8
	s_cselect_b32 s5, s10, s5
	s_sub_co_i32 s38, s7, s4
	s_xor_b32 s5, s5, s11
	s_delay_alu instid0(SALU_CYCLE_1) | instskip(SKIP_4) | instid1(SALU_CYCLE_1)
	s_sub_co_i32 s37, s5, s11
	s_load_b128 s[4:7], s[0:1], 0x0
	s_mul_i32 s2, s37, s2
	v_lshl_or_b32 v141, s37, 7, v136
	s_sub_co_i32 s2, s3, s2
	s_add_co_i32 s38, s38, s2
	s_clause 0x5
	s_load_b32 s10, s[0:1], 0x44
	s_load_b32 s13, s[0:1], 0x50
	;; [unrolled: 1-line block ×6, first 2 shown]
	v_lshl_or_b32 v138, s38, 8, v131
	v_lshlrev_b32_e32 v131, 4, v131
	s_wait_kmcnt 0x0
	s_delay_alu instid0(VALU_DEP_2) | instskip(NEXT) | instid1(VALU_DEP_2)
	v_mul_lo_u32 v140, v138, s9
	v_mad_u32_u24 v173, 0x1010, v130, v131
	v_add_nc_u32_e32 v136, v168, v131
	v_mad_u32_u24 v168, 0x810, v130, v171
	s_delay_alu instid0(VALU_DEP_4)
	v_add_nc_u32_e32 v1, v140, v139
	s_mov_b32 s24, s4
	s_and_b32 s25, s5, 0xffff
	v_mul_lo_u32 v142, v141, s11
	s_mov_b32 s21, s25
	v_add_nc_u32_e32 v2, s9, v1
	v_lshlrev_b32_e32 v1, 1, v1
	s_lshl_b32 s26, s8, 1
	s_ashr_i32 s5, s3, 31
	s_mov_b32 s22, s26
	v_add_nc_u32_e32 v3, s9, v2
	v_lshlrev_b32_e32 v2, 1, v2
	buffer_load_b128 v[144:147], v1, s[24:27], null offen
	v_add_nc_u32_e32 v4, v142, v139
	s_lshr_b32 s5, s5, 30
	v_cmp_gt_i32_e32 vcc_lo, s2, v141
	buffer_load_b128 v[148:151], v2, s[24:27], null offen
	v_lshlrev_b32_e32 v1, 1, v3
	v_add_lshl_u32 v2, v3, s9, 1
	s_add_co_i32 s3, s3, s5
	s_mov_b32 s20, s4
	s_wait_alu 0xfffe
	s_ashr_i32 s3, s3, 2
	buffer_load_b128 v[152:155], v1, s[24:27], null offen
	v_lshlrev_b32_e32 v1, 1, v4
	s_clause 0x5
	s_load_b32 s33, s[0:1], 0xc8
	s_load_b32 s31, s[0:1], 0xd4
	;; [unrolled: 1-line block ×3, first 2 shown]
	s_load_b64 s[14:15], s[0:1], 0x108
	s_load_b32 s34, s[0:1], 0x118
	s_load_b32 s30, s[0:1], 0x124
	buffer_load_b128 v[156:159], v2, s[24:27], null offen
	v_add_lshl_u32 v2, v4, s11, 1
	s_lshl_b32 s26, s12, 1
	s_and_b32 s25, s7, 0xffff
	s_mov_b32 s24, s6
	s_clause 0x1
	buffer_load_b128 v[160:163], v1, s[24:27], null offen
	buffer_load_b128 v[164:167], v2, s[24:27], null offen
	s_clause 0x2
	s_load_b32 s35, s[0:1], 0x130
	s_load_b64 s[18:19], s[0:1], 0x158
	s_load_b64 s[28:29], s[0:1], 0x24
	s_wait_kmcnt 0x0
	s_load_b32 s15, s[0:1], 0x98
	v_dual_mov_b32 v4, v8 :: v_dual_lshlrev_b32 v169, 4, v133
	v_cmp_gt_i32_e64 s7, s13, v139
	s_max_i32 s3, s3, 2
	v_mov_b32_e32 v125, v8
	s_wait_alu 0xfffe
	s_add_co_i32 s19, s3, -1
	v_lshl_or_b32 v137, v137, 1, v169
	v_and_or_b32 v169, 0x300, v129, v169
	v_cmp_gt_i32_e64 s3, s10, v138
	v_mov_b32_e32 v123, v8
	s_delay_alu instid0(VALU_DEP_4) | instskip(NEXT) | instid1(VALU_DEP_4)
	v_dual_mov_b32 v1, v8 :: v_dual_add_nc_u32 v130, v137, v172
	v_add_nc_u32_e32 v131, v169, v143
	v_or_b32_e32 v143, 1, v138
	v_dual_mov_b32 v2, v8 :: v_dual_add_nc_u32 v137, v171, v170
	v_mov_b32_e32 v3, v8
	s_delay_alu instid0(VALU_DEP_3)
	v_cmp_gt_i32_e64 s4, s10, v143
	s_wait_kmcnt 0x0
	v_cmp_gt_i32_e64 s8, s15, v139
	v_or_b32_e32 v139, 1, v141
	v_or_b32_e32 v141, 2, v138
	v_add_nc_u32_e32 v143, s9, v140
	v_lshl_add_u32 v140, v140, 1, 64
	s_delay_alu instid0(VALU_DEP_4)
	v_cmp_gt_i32_e64 s2, s2, v139
	v_or_b32_e32 v139, 3, v138
	v_mul_lo_u32 v170, s9, v141
	v_cmp_gt_i32_e64 s5, s10, v141
	v_lshl_add_u32 v138, v142, 1, 64
	v_add_nc_u32_e32 v142, s11, v142
	v_mul_lo_u32 v169, s9, v139
	v_cmp_gt_i32_e64 s6, s10, v139
	s_and_b32 s9, s7, s3
	v_lshl_add_u32 v143, v143, 1, 64
	v_lshl_add_u32 v139, v142, 1, 64
	;; [unrolled: 1-line block ×4, first 2 shown]
	s_wait_loadcnt 0x5
	s_wait_alu 0xfffe
	v_cndmask_b32_e64 v147, 0, v147, s9
	v_cndmask_b32_e64 v146, 0, v146, s9
	;; [unrolled: 1-line block ×4, first 2 shown]
	s_and_b32 s9, s7, s4
	s_wait_loadcnt 0x4
	s_wait_alu 0xfffe
	v_cndmask_b32_e64 v151, 0, v151, s9
	v_cndmask_b32_e64 v150, 0, v150, s9
	;; [unrolled: 1-line block ×4, first 2 shown]
	s_and_b32 s9, s7, s5
	s_and_b32 s7, s7, s6
	s_wait_loadcnt 0x3
	s_wait_alu 0xfffe
	v_cndmask_b32_e64 v155, 0, v155, s9
	s_wait_loadcnt 0x2
	v_cndmask_b32_e64 v159, 0, v159, s7
	v_cndmask_b32_e64 v158, 0, v158, s7
	;; [unrolled: 1-line block ×4, first 2 shown]
	s_and_b32 s7, s8, vcc_lo
	v_cndmask_b32_e64 v154, 0, v154, s9
	v_cndmask_b32_e64 v153, 0, v153, s9
	;; [unrolled: 1-line block ×3, first 2 shown]
	s_wait_loadcnt 0x1
	s_wait_alu 0xfffe
	v_cndmask_b32_e64 v163, 0, v163, s7
	v_cndmask_b32_e64 v162, 0, v162, s7
	;; [unrolled: 1-line block ×4, first 2 shown]
	s_and_b32 s7, s8, s2
	s_wait_loadcnt 0x0
	s_wait_alu 0xfffe
	v_cndmask_b32_e64 v167, 0, v167, s7
	v_cndmask_b32_e64 v166, 0, v166, s7
	;; [unrolled: 1-line block ×4, first 2 shown]
	ds_store_b128 v173, v[144:147]
	ds_store_b128 v173, v[148:151] offset:16
	ds_store_b128 v173, v[152:155] offset:32
	;; [unrolled: 1-line block ×5, first 2 shown]
.LBB3_1:                                ; =>This Inner Loop Header: Depth=1
	v_add_nc_u32_e32 v144, v134, v140
	v_add_nc_u32_e32 v148, v134, v143
	;; [unrolled: 1-line block ×6, first 2 shown]
	s_clause 0x3
	buffer_load_b128 v[144:147], v144, s[20:23], null offen
	buffer_load_b128 v[148:151], v148, s[20:23], null offen
	;; [unrolled: 1-line block ×4, first 2 shown]
	s_wait_dscnt 0x0
	s_barrier_signal -1
	s_barrier_wait -1
	s_clause 0x1
	buffer_load_b128 v[160:163], v160, s[24:27], null offen
	buffer_load_b128 v[164:167], v164, s[24:27], null offen
	ds_load_b128 v[168:171], v130
	ds_load_b128 v[172:175], v131 offset:16432
	ds_load_b128 v[176:179], v131 offset:17456
	;; [unrolled: 1-line block ×5, first 2 shown]
	v_cmp_gt_i32_e64 s7, s13, v135
	v_cmp_gt_i32_e64 s8, s15, v135
	v_add_nc_u32_e32 v135, 32, v135
	v_add_nc_u32_e32 v138, 64, v138
	;; [unrolled: 1-line block ×3, first 2 shown]
	s_and_b32 s9, s3, s7
	s_and_b32 s10, s4, s7
	v_add_nc_u32_e32 v140, 64, v140
	v_add_nc_u32_e32 v141, 64, v141
	;; [unrolled: 1-line block ×4, first 2 shown]
	s_and_b32 s11, s5, s7
	s_add_co_i32 s19, s19, -1
	s_and_b32 s7, s6, s7
	s_and_b32 s12, vcc_lo, s8
	s_wait_dscnt 0x4
	v_wmma_f32_16x16x16_f16 v[120:127], v[168:171], v[172:175], v[120:127]
	s_wait_dscnt 0x3
	v_wmma_f32_16x16x16_f16 v[112:119], v[168:171], v[176:179], v[112:119]
	ds_load_b128 v[168:171], v130 offset:2048
	s_wait_dscnt 0x3
	v_wmma_f32_16x16x16_f16 v[96:103], v[180:183], v[172:175], v[96:103]
	v_wmma_f32_16x16x16_f16 v[104:111], v[180:183], v[176:179], v[104:111]
	ds_load_b128 v[180:183], v130 offset:2560
	s_wait_dscnt 0x3
	v_wmma_f32_16x16x16_f16 v[88:95], v[184:187], v[172:175], v[88:95]
	;; [unrolled: 4-line block ×3, first 2 shown]
	v_wmma_f32_16x16x16_f16 v[72:79], v[188:191], v[176:179], v[72:79]
	ds_load_b128 v[188:191], v130 offset:3584
	s_and_b32 s8, s2, s8
	s_cmp_lg_u32 s19, 0
	s_wait_dscnt 0x3
	v_wmma_f32_16x16x16_f16 v[56:63], v[168:171], v[172:175], v[56:63]
	v_wmma_f32_16x16x16_f16 v[48:55], v[168:171], v[176:179], v[48:55]
	ds_load_b128 v[168:171], v130 offset:4112
	s_wait_dscnt 0x3
	v_wmma_f32_16x16x16_f16 v[32:39], v[180:183], v[172:175], v[32:39]
	v_wmma_f32_16x16x16_f16 v[40:47], v[180:183], v[176:179], v[40:47]
	ds_load_b128 v[180:183], v131 offset:18496
	;; [unrolled: 4-line block ×3, first 2 shown]
	s_wait_dscnt 0x3
	v_wmma_f32_16x16x16_f16 v[0:7], v[188:191], v[172:175], v[0:7]
	ds_load_b128 v[172:175], v130 offset:4624
	v_wmma_f32_16x16x16_f16 v[8:15], v[188:191], v[176:179], v[8:15]
	ds_load_b128 v[176:179], v130 offset:5136
	ds_load_b128 v[188:191], v130 offset:5648
	s_wait_dscnt 0x4
	v_wmma_f32_16x16x16_f16 v[120:127], v[168:171], v[180:183], v[120:127]
	s_wait_dscnt 0x3
	v_wmma_f32_16x16x16_f16 v[112:119], v[168:171], v[184:187], v[112:119]
	ds_load_b128 v[168:171], v130 offset:6160
	s_wait_dscnt 0x3
	v_wmma_f32_16x16x16_f16 v[96:103], v[172:175], v[180:183], v[96:103]
	v_wmma_f32_16x16x16_f16 v[104:111], v[172:175], v[184:187], v[104:111]
	ds_load_b128 v[172:175], v130 offset:6672
	s_wait_dscnt 0x3
	v_wmma_f32_16x16x16_f16 v[88:95], v[176:179], v[180:183], v[88:95]
	;; [unrolled: 4-line block ×3, first 2 shown]
	v_wmma_f32_16x16x16_f16 v[72:79], v[188:191], v[184:187], v[72:79]
	ds_load_b128 v[188:191], v130 offset:7696
	s_wait_dscnt 0x0
	s_barrier_signal -1
	s_barrier_wait -1
	v_wmma_f32_16x16x16_f16 v[56:63], v[168:171], v[180:183], v[56:63]
	v_wmma_f32_16x16x16_f16 v[48:55], v[168:171], v[184:187], v[48:55]
	;; [unrolled: 1-line block ×8, first 2 shown]
	s_wait_loadcnt 0x5
	s_wait_alu 0xfffe
	v_cndmask_b32_e64 v147, 0, v147, s9
	v_cndmask_b32_e64 v146, 0, v146, s9
	v_cndmask_b32_e64 v145, 0, v145, s9
	v_cndmask_b32_e64 v144, 0, v144, s9
	s_wait_loadcnt 0x4
	v_cndmask_b32_e64 v151, 0, v151, s10
	v_cndmask_b32_e64 v150, 0, v150, s10
	v_cndmask_b32_e64 v149, 0, v149, s10
	v_cndmask_b32_e64 v148, 0, v148, s10
	s_wait_loadcnt 0x3
	;; [unrolled: 5-line block ×5, first 2 shown]
	v_cndmask_b32_e64 v167, 0, v167, s8
	v_cndmask_b32_e64 v166, 0, v166, s8
	;; [unrolled: 1-line block ×4, first 2 shown]
	ds_store_b128 v136, v[144:147]
	ds_store_b128 v136, v[148:151] offset:16
	ds_store_b128 v136, v[152:155] offset:32
	;; [unrolled: 1-line block ×5, first 2 shown]
	s_cbranch_scc1 .LBB3_1
; %bb.2:
	s_wait_dscnt 0x0
	s_barrier_signal -1
	s_barrier_wait -1
	ds_load_b128 v[134:137], v130
	ds_load_b128 v[138:141], v130 offset:4112
	ds_load_b128 v[142:145], v131 offset:16432
	;; [unrolled: 1-line block ×5, first 2 shown]
	v_lshl_or_b32 v131, s38, 8, v132
	s_load_b64 s[12:13], s[0:1], 0x10
	v_lshlrev_b32_e32 v133, 2, v133
	s_lshl_b32 s14, s14, 1
	s_mov_b32 s15, 0x31004000
	v_cmp_gt_i32_e64 s5, s31, v131
	v_cmp_gt_i32_e64 s7, s30, v131
	s_lshl_b32 s18, s18, 1
	s_and_b32 s17, s17, 0xffff
	s_wait_alu 0xfffe
	s_mov_b32 s19, s15
	s_lshl_b32 s11, s33, 5
	s_lshl_b32 s10, s34, 5
	s_wait_dscnt 0x3
	v_wmma_f32_16x16x16_f16 v[120:127], v[134:137], v[142:145], v[120:127]
	s_wait_dscnt 0x1
	v_wmma_f32_16x16x16_f16 v[112:119], v[134:137], v[150:153], v[112:119]
	s_wait_kmcnt 0x0
	s_and_b32 s13, s13, 0xffff
	v_wmma_f32_16x16x16_f16 v[120:127], v[138:141], v[146:149], v[120:127]
	s_wait_dscnt 0x0
	v_wmma_f32_16x16x16_f16 v[112:119], v[138:141], v[154:157], v[112:119]
	ds_load_b128 v[134:137], v130 offset:512
	ds_load_b128 v[138:141], v130 offset:4624
	s_wait_dscnt 0x1
	v_wmma_f32_16x16x16_f16 v[96:103], v[134:137], v[142:145], v[96:103]
	v_wmma_f32_16x16x16_f16 v[104:111], v[134:137], v[150:153], v[104:111]
	s_wait_dscnt 0x0
	s_delay_alu instid0(VALU_DEP_2) | instskip(NEXT) | instid1(VALU_DEP_2)
	v_wmma_f32_16x16x16_f16 v[96:103], v[138:141], v[146:149], v[96:103]
	v_wmma_f32_16x16x16_f16 v[104:111], v[138:141], v[154:157], v[104:111]
	ds_load_b128 v[134:137], v130 offset:1024
	ds_load_b128 v[138:141], v130 offset:5136
	s_wait_dscnt 0x1
	v_wmma_f32_16x16x16_f16 v[88:95], v[134:137], v[142:145], v[88:95]
	v_wmma_f32_16x16x16_f16 v[80:87], v[134:137], v[150:153], v[80:87]
	s_wait_dscnt 0x0
	s_delay_alu instid0(VALU_DEP_2) | instskip(NEXT) | instid1(VALU_DEP_2)
	v_wmma_f32_16x16x16_f16 v[88:95], v[138:141], v[146:149], v[88:95]
	;; [unrolled: 9-line block ×6, first 2 shown]
	v_wmma_f32_16x16x16_f16 v[16:23], v[138:141], v[154:157], v[16:23]
	ds_load_b128 v[134:137], v130 offset:3584
	ds_load_b128 v[138:141], v130 offset:7696
	s_wait_dscnt 0x0
	s_barrier_signal -1
	s_barrier_wait -1
	v_wmma_f32_16x16x16_f16 v[0:7], v[134:137], v[142:145], v[0:7]
	v_wmma_f32_16x16x16_f16 v[8:15], v[134:137], v[150:153], v[8:15]
	v_and_b32_e32 v137, 56, v129
	s_delay_alu instid0(VALU_DEP_3) | instskip(NEXT) | instid1(VALU_DEP_3)
	v_wmma_f32_16x16x16_f16 v[0:7], v[138:141], v[146:149], v[0:7]
	v_wmma_f32_16x16x16_f16 v[8:15], v[138:141], v[154:157], v[8:15]
	s_delay_alu instid0(VALU_DEP_3) | instskip(NEXT) | instid1(VALU_DEP_1)
	v_lshl_or_b32 v136, s37, 7, v137
	v_cmp_gt_i32_e64 s2, s36, v136
	s_and_b32 vcc_lo, s2, s5
	v_and_b32_e32 v134, 48, v128
	v_and_b32_e32 v128, 8, v128
	s_delay_alu instid0(VALU_DEP_1) | instskip(SKIP_3) | instid1(VALU_DEP_4)
	v_and_or_b32 v135, v132, 16, v128
	v_mad_co_u64_u32 v[128:129], null, v131, s33, v[136:137]
	v_mad_co_u64_u32 v[129:130], null, v131, s34, v[136:137]
	v_lshlrev_b32_e32 v130, 2, v134
	v_lshlrev_b32_e32 v134, 8, v135
	s_delay_alu instid0(VALU_DEP_1)
	v_or3_b32 v130, v130, v134, v133
	ds_store_2addr_stride64_b32 v130, v120, v121 offset1:1
	ds_store_2addr_stride64_b32 v130, v122, v123 offset0:2 offset1:3
	ds_store_2addr_stride64_b32 v130, v124, v125 offset0:4 offset1:5
	;; [unrolled: 1-line block ×3, first 2 shown]
	v_lshlrev_b32_e32 v120, 2, v137
	v_lshlrev_b32_e32 v127, 1, v128
	s_wait_dscnt 0x0
	s_barrier_signal -1
	s_barrier_wait -1
	v_lshl_or_b32 v120, v132, 8, v120
	buffer_load_b128 v[132:135], v127, s[12:15], null offen
	ds_load_b128 v[121:124], v120
	s_wait_loadcnt 0x0
	v_dual_cndmask_b32 v126, 0, v132 :: v_dual_cndmask_b32 v133, 0, v133
	v_cmp_gt_i32_e32 vcc_lo, s35, v136
	v_lshlrev_b32_e32 v132, 1, v129
	s_delay_alu instid0(VALU_DEP_3) | instskip(SKIP_1) | instid1(VALU_DEP_1)
	v_cvt_f32_f16_e32 v125, v126
	s_and_b32 s0, vcc_lo, s7
	v_mul_f32_e32 v125, s29, v125
	s_wait_dscnt 0x0
	s_delay_alu instid0(VALU_DEP_1) | instskip(SKIP_2) | instid1(VALU_DEP_2)
	v_fma_mixlo_f16 v125, s28, v121, v125
	v_lshrrev_b32_e32 v121, 16, v126
	v_cvt_f32_f16_e64 v126, v133
	v_cvt_f32_f16_e32 v121, v121
	s_delay_alu instid0(VALU_DEP_1) | instskip(NEXT) | instid1(VALU_DEP_1)
	v_dual_mul_f32 v126, s29, v126 :: v_dual_mul_f32 v121, s29, v121
	v_fma_mixlo_f16 v126, s28, v123, v126
	v_lshrrev_b32_e32 v123, 16, v133
	v_or_b32_e32 v133, 4, v136
	s_delay_alu instid0(VALU_DEP_4) | instskip(SKIP_1) | instid1(VALU_DEP_4)
	v_fma_mixhi_f16 v125, s28, v122, v121
	v_cndmask_b32_e64 v121, 0x80000000, 0, s0
	v_cvt_f32_f16_e32 v123, v123
	s_delay_alu instid0(VALU_DEP_4) | instskip(NEXT) | instid1(VALU_DEP_3)
	v_cmp_gt_i32_e64 s0, s36, v133
	v_add_nc_u32_e32 v121, v121, v132
	s_delay_alu instid0(VALU_DEP_3) | instskip(SKIP_3) | instid1(VALU_DEP_2)
	v_mul_f32_e32 v123, s29, v123
	s_and_b32 s1, s5, s0
	s_wait_alu 0xfffe
	v_cndmask_b32_e64 v135, 0, v135, s1
	v_fma_mixhi_f16 v126, s28, v124, v123
	buffer_store_b64 v[125:126], v121, s[16:19], null offen
	ds_load_b128 v[121:124], v120 offset:16
	v_cndmask_b32_e64 v126, 0, v134, s1
	v_cmp_gt_i32_e64 s1, s35, v133
	s_delay_alu instid0(VALU_DEP_2) | instskip(SKIP_1) | instid1(VALU_DEP_1)
	v_cvt_f32_f16_e32 v125, v126
	s_and_b32 s3, s7, s1
	v_mul_f32_e32 v125, s29, v125
	s_wait_dscnt 0x0
	s_delay_alu instid0(VALU_DEP_1) | instskip(SKIP_2) | instid1(VALU_DEP_2)
	v_fma_mixlo_f16 v125, s28, v121, v125
	v_lshrrev_b32_e32 v121, 16, v126
	v_cvt_f32_f16_e64 v126, v135
	v_cvt_f32_f16_e32 v121, v121
	s_delay_alu instid0(VALU_DEP_1) | instskip(NEXT) | instid1(VALU_DEP_1)
	v_dual_mul_f32 v126, s29, v126 :: v_dual_mul_f32 v121, s29, v121
	v_fma_mixlo_f16 v126, s28, v123, v126
	v_lshrrev_b32_e32 v123, 16, v135
	s_delay_alu instid0(VALU_DEP_3) | instskip(SKIP_2) | instid1(VALU_DEP_3)
	v_fma_mixhi_f16 v125, s28, v122, v121
	s_wait_alu 0xfffe
	v_cndmask_b32_e64 v121, 0x80000000, 0, s3
	v_cvt_f32_f16_e32 v123, v123
	s_delay_alu instid0(VALU_DEP_1) | instskip(NEXT) | instid1(VALU_DEP_3)
	v_dual_mul_f32 v123, s29, v123 :: v_dual_add_nc_u32 v122, 64, v128
	v_add_nc_u32_e32 v121, v132, v121
	s_delay_alu instid0(VALU_DEP_2)
	v_fma_mixhi_f16 v126, s28, v124, v123
	buffer_store_b64 v[125:126], v121, s[16:19], null offen offset:8
	s_wait_dscnt 0x0
	s_barrier_signal -1
	s_barrier_wait -1
	ds_store_2addr_stride64_b32 v130, v112, v113 offset1:1
	ds_store_2addr_stride64_b32 v130, v114, v115 offset0:2 offset1:3
	ds_store_2addr_stride64_b32 v130, v116, v117 offset0:4 offset1:5
	;; [unrolled: 1-line block ×3, first 2 shown]
	v_lshlrev_b32_e32 v116, 1, v122
	s_wait_dscnt 0x0
	s_barrier_signal -1
	s_barrier_wait -1
	v_or_b32_e32 v121, 64, v136
	buffer_load_b64 v[116:117], v116, s[12:15], null offen
	ds_load_b128 v[112:115], v120
	v_cmp_gt_i32_e64 s6, s36, v121
	v_cmp_gt_i32_e64 s4, s35, v121
	s_and_b32 s3, s5, s6
	s_wait_loadcnt 0x0
	s_wait_alu 0xfffe
	v_cndmask_b32_e64 v118, 0, v117, s3
	v_cndmask_b32_e64 v117, 0, v116, s3
	s_and_b32 s3, s7, s4
	s_delay_alu instid0(VALU_DEP_1) | instskip(NEXT) | instid1(VALU_DEP_1)
	v_cvt_f32_f16_e32 v116, v117
	v_mul_f32_e32 v116, s29, v116
	s_wait_dscnt 0x0
	s_delay_alu instid0(VALU_DEP_1) | instskip(SKIP_2) | instid1(VALU_DEP_2)
	v_fma_mixlo_f16 v116, s28, v112, v116
	v_lshrrev_b32_e32 v112, 16, v117
	v_cvt_f32_f16_e32 v117, v118
	v_cvt_f32_f16_e32 v112, v112
	s_delay_alu instid0(VALU_DEP_2) | instskip(NEXT) | instid1(VALU_DEP_2)
	v_mul_f32_e32 v117, s29, v117
	v_dual_mul_f32 v112, s29, v112 :: v_dual_add_nc_u32 v123, 64, v129
	s_delay_alu instid0(VALU_DEP_2) | instskip(SKIP_2) | instid1(VALU_DEP_4)
	v_fma_mixlo_f16 v117, s28, v114, v117
	v_lshrrev_b32_e32 v114, 16, v118
	v_or_b32_e32 v118, 0x44, v136
	v_fma_mixhi_f16 v116, s28, v113, v112
	s_wait_alu 0xfffe
	v_cndmask_b32_e64 v112, 0x80000000, 0, s3
	v_cvt_f32_f16_e32 v114, v114
	v_cmp_gt_i32_e64 s3, s36, v118
	s_delay_alu instid0(VALU_DEP_3) | instskip(NEXT) | instid1(VALU_DEP_3)
	v_lshl_add_u32 v112, v123, 1, v112
	v_mul_f32_e32 v114, s29, v114
	s_and_b32 s5, s5, s3
	s_delay_alu instid0(VALU_DEP_1)
	v_fma_mixhi_f16 v117, s28, v115, v114
	buffer_store_b64 v[116:117], v112, s[16:19], null offen
	buffer_load_b64 v[116:117], v127, s[12:15], null offen offset:136
	ds_load_b128 v[112:115], v120 offset:16
	s_wait_loadcnt 0x0
	v_cndmask_b32_e64 v119, 0, v117, s5
	v_cndmask_b32_e64 v117, 0, v116, s5
	v_cmp_gt_i32_e64 s5, s35, v118
	s_delay_alu instid0(VALU_DEP_2) | instskip(SKIP_1) | instid1(VALU_DEP_1)
	v_cvt_f32_f16_e32 v116, v117
	s_and_b32 s7, s7, s5
	v_mul_f32_e32 v116, s29, v116
	s_wait_dscnt 0x0
	s_delay_alu instid0(VALU_DEP_1) | instskip(SKIP_2) | instid1(VALU_DEP_2)
	v_fma_mixlo_f16 v116, s28, v112, v116
	v_lshrrev_b32_e32 v112, 16, v117
	v_cvt_f32_f16_e32 v117, v119
	v_cvt_f32_f16_e32 v112, v112
	s_delay_alu instid0(VALU_DEP_1) | instskip(NEXT) | instid1(VALU_DEP_1)
	v_dual_mul_f32 v117, s29, v117 :: v_dual_mul_f32 v112, s29, v112
	v_fma_mixlo_f16 v117, s28, v114, v117
	v_lshrrev_b32_e32 v114, 16, v119
	s_delay_alu instid0(VALU_DEP_3) | instskip(SKIP_2) | instid1(VALU_DEP_3)
	v_fma_mixhi_f16 v116, s28, v113, v112
	s_wait_alu 0xfffe
	v_cndmask_b32_e64 v112, 0x80000000, 0, s7
	v_cvt_f32_f16_e32 v114, v114
	s_delay_alu instid0(VALU_DEP_2) | instskip(NEXT) | instid1(VALU_DEP_2)
	v_add_nc_u32_e32 v112, v132, v112
	v_mul_f32_e32 v114, s29, v114
	s_delay_alu instid0(VALU_DEP_1)
	v_fma_mixhi_f16 v117, s28, v115, v114
	buffer_store_b64 v[116:117], v112, s[16:19], null offen offset:136
	s_wait_dscnt 0x0
	s_barrier_signal -1
	s_barrier_wait -1
	ds_store_2addr_stride64_b32 v130, v104, v105 offset1:1
	ds_store_2addr_stride64_b32 v130, v106, v107 offset0:2 offset1:3
	ds_store_2addr_stride64_b32 v130, v108, v109 offset0:4 offset1:5
	;; [unrolled: 1-line block ×3, first 2 shown]
	v_add_lshl_u32 v108, v122, s11, 1
	s_wait_dscnt 0x0
	s_barrier_signal -1
	s_barrier_wait -1
	v_or_b32_e32 v112, 32, v131
	buffer_load_b128 v[108:111], v108, s[12:15], null offen
	ds_load_b128 v[104:107], v120
	v_cmp_gt_i32_e64 s8, s31, v112
	s_and_b32 s7, s6, s8
	s_wait_loadcnt 0x0
	s_wait_alu 0xfffe
	v_cndmask_b32_e64 v113, 0, v109, s7
	v_cndmask_b32_e64 v109, 0, v108, s7
	v_cmp_gt_i32_e64 s7, s30, v112
	v_add_lshl_u32 v112, v123, s10, 1
	s_delay_alu instid0(VALU_DEP_3) | instskip(SKIP_1) | instid1(VALU_DEP_1)
	v_cvt_f32_f16_e32 v108, v109
	s_and_b32 s9, s4, s7
	v_mul_f32_e32 v108, s29, v108
	s_wait_dscnt 0x0
	s_delay_alu instid0(VALU_DEP_1) | instskip(SKIP_2) | instid1(VALU_DEP_2)
	v_fma_mixlo_f16 v108, s28, v104, v108
	v_lshrrev_b32_e32 v104, 16, v109
	v_cvt_f32_f16_e32 v109, v113
	v_cvt_f32_f16_e32 v104, v104
	s_delay_alu instid0(VALU_DEP_1) | instskip(NEXT) | instid1(VALU_DEP_1)
	v_dual_mul_f32 v109, s29, v109 :: v_dual_mul_f32 v104, s29, v104
	v_fma_mixlo_f16 v109, s28, v106, v109
	v_lshrrev_b32_e32 v106, 16, v113
	s_delay_alu instid0(VALU_DEP_3) | instskip(SKIP_2) | instid1(VALU_DEP_3)
	v_fma_mixhi_f16 v108, s28, v105, v104
	s_wait_alu 0xfffe
	v_cndmask_b32_e64 v104, 0x80000000, 0, s9
	v_cvt_f32_f16_e32 v106, v106
	s_and_b32 s9, s3, s8
	s_wait_alu 0xfffe
	v_cndmask_b32_e64 v111, 0, v111, s9
	v_add_nc_u32_e32 v104, v112, v104
	v_mul_f32_e32 v106, s29, v106
	s_delay_alu instid0(VALU_DEP_1) | instskip(SKIP_4) | instid1(VALU_DEP_1)
	v_fma_mixhi_f16 v109, s28, v107, v106
	buffer_store_b64 v[108:109], v104, s[16:19], null offen
	ds_load_b128 v[104:107], v120 offset:16
	v_cndmask_b32_e64 v109, 0, v110, s9
	s_and_b32 s9, s5, s7
	v_cvt_f32_f16_e32 v108, v109
	s_delay_alu instid0(VALU_DEP_1) | instskip(SKIP_1) | instid1(VALU_DEP_1)
	v_mul_f32_e32 v108, s29, v108
	s_wait_dscnt 0x0
	v_fma_mixlo_f16 v108, s28, v104, v108
	v_lshrrev_b32_e32 v104, 16, v109
	v_cvt_f32_f16_e32 v109, v111
	s_delay_alu instid0(VALU_DEP_2) | instskip(NEXT) | instid1(VALU_DEP_1)
	v_cvt_f32_f16_e32 v104, v104
	v_dual_mul_f32 v109, s29, v109 :: v_dual_mul_f32 v104, s29, v104
	s_delay_alu instid0(VALU_DEP_1) | instskip(SKIP_1) | instid1(VALU_DEP_3)
	v_fma_mixlo_f16 v109, s28, v106, v109
	v_lshrrev_b32_e32 v106, 16, v111
	v_fma_mixhi_f16 v108, s28, v105, v104
	s_wait_alu 0xfffe
	v_cndmask_b32_e64 v104, 0x80000008, 8, s9
	s_delay_alu instid0(VALU_DEP_3)
	v_cvt_f32_f16_e32 v106, v106
	s_and_b32 s9, s2, s8
	v_add_nc_u32_e32 v105, s10, v129
	s_and_b32 s8, s0, s8
	v_add_nc_u32_e32 v104, v104, v112
	v_mul_f32_e32 v106, s29, v106
	s_delay_alu instid0(VALU_DEP_1)
	v_fma_mixhi_f16 v109, s28, v107, v106
	buffer_store_b64 v[108:109], v104, s[16:19], null offen
	v_add_nc_u32_e32 v104, s11, v128
	s_wait_dscnt 0x0
	s_barrier_signal -1
	s_barrier_wait -1
	ds_store_2addr_stride64_b32 v130, v96, v97 offset1:1
	ds_store_2addr_stride64_b32 v130, v98, v99 offset0:2 offset1:3
	ds_store_2addr_stride64_b32 v130, v100, v101 offset0:4 offset1:5
	;; [unrolled: 1-line block ×3, first 2 shown]
	v_lshlrev_b32_e32 v100, 1, v104
	s_wait_dscnt 0x0
	s_barrier_signal -1
	s_barrier_wait -1
	ds_load_b128 v[96:99], v120
	buffer_load_b128 v[100:103], v100, s[12:15], null offen
	s_wait_loadcnt 0x0
	v_cndmask_b32_e64 v106, 0, v101, s9
	v_cndmask_b32_e64 v101, 0, v100, s9
	s_and_b32 s9, vcc_lo, s7
	v_cndmask_b32_e64 v103, 0, v103, s8
	s_and_b32 s7, s1, s7
	s_delay_alu instid0(VALU_DEP_2) | instskip(NEXT) | instid1(VALU_DEP_1)
	v_cvt_f32_f16_e32 v100, v101
	v_mul_f32_e32 v100, s29, v100
	s_wait_dscnt 0x0
	s_delay_alu instid0(VALU_DEP_1) | instskip(SKIP_2) | instid1(VALU_DEP_2)
	v_fma_mixlo_f16 v100, s28, v96, v100
	v_lshrrev_b32_e32 v96, 16, v101
	v_cvt_f32_f16_e32 v101, v106
	v_cvt_f32_f16_e32 v96, v96
	s_delay_alu instid0(VALU_DEP_1) | instskip(NEXT) | instid1(VALU_DEP_1)
	v_dual_mul_f32 v101, s29, v101 :: v_dual_mul_f32 v96, s29, v96
	v_fma_mixlo_f16 v101, s28, v98, v101
	v_lshrrev_b32_e32 v98, 16, v106
	v_lshlrev_b32_e32 v106, 1, v105
	s_delay_alu instid0(VALU_DEP_4) | instskip(SKIP_3) | instid1(VALU_DEP_2)
	v_fma_mixhi_f16 v100, s28, v97, v96
	s_wait_alu 0xfffe
	v_cndmask_b32_e64 v96, 0x80000000, 0, s9
	v_cvt_f32_f16_e32 v98, v98
	v_add_nc_u32_e32 v96, v96, v106
	s_delay_alu instid0(VALU_DEP_2) | instskip(NEXT) | instid1(VALU_DEP_1)
	v_mul_f32_e32 v98, s29, v98
	v_fma_mixhi_f16 v101, s28, v99, v98
	buffer_store_b64 v[100:101], v96, s[16:19], null offen
	ds_load_b128 v[96:99], v120 offset:16
	v_cndmask_b32_e64 v101, 0, v102, s8
	s_delay_alu instid0(VALU_DEP_1) | instskip(NEXT) | instid1(VALU_DEP_1)
	v_cvt_f32_f16_e32 v100, v101
	v_mul_f32_e32 v100, s29, v100
	s_wait_dscnt 0x0
	s_delay_alu instid0(VALU_DEP_1) | instskip(SKIP_2) | instid1(VALU_DEP_2)
	v_fma_mixlo_f16 v100, s28, v96, v100
	v_lshrrev_b32_e32 v96, 16, v101
	v_cvt_f32_f16_e32 v101, v103
	v_cvt_f32_f16_e32 v96, v96
	s_delay_alu instid0(VALU_DEP_1) | instskip(NEXT) | instid1(VALU_DEP_1)
	v_dual_mul_f32 v101, s29, v101 :: v_dual_mul_f32 v96, s29, v96
	v_fma_mixlo_f16 v101, s28, v98, v101
	v_lshrrev_b32_e32 v98, 16, v103
	s_delay_alu instid0(VALU_DEP_3) | instskip(SKIP_1) | instid1(VALU_DEP_3)
	v_fma_mixhi_f16 v100, s28, v97, v96
	v_cndmask_b32_e64 v96, 0x80000000, 0, s7
	v_cvt_f32_f16_e32 v98, v98
	v_add_nc_u32_e32 v97, s10, v105
	s_delay_alu instid0(VALU_DEP_3) | instskip(NEXT) | instid1(VALU_DEP_3)
	v_add_nc_u32_e32 v96, v106, v96
	v_mul_f32_e32 v98, s29, v98
	s_delay_alu instid0(VALU_DEP_1)
	v_fma_mixhi_f16 v101, s28, v99, v98
	v_or_b32_e32 v98, 64, v131
	buffer_store_b64 v[100:101], v96, s[16:19], null offen offset:8
	v_add_nc_u32_e32 v96, s11, v104
	s_wait_dscnt 0x0
	s_barrier_signal -1
	s_barrier_wait -1
	ds_store_2addr_stride64_b32 v130, v88, v89 offset1:1
	ds_store_2addr_stride64_b32 v130, v90, v91 offset0:2 offset1:3
	ds_store_2addr_stride64_b32 v130, v92, v93 offset0:4 offset1:5
	;; [unrolled: 1-line block ×3, first 2 shown]
	v_lshlrev_b32_e32 v99, 1, v96
	s_wait_dscnt 0x0
	s_barrier_signal -1
	s_barrier_wait -1
	v_cmp_gt_i32_e64 s7, s31, v98
	buffer_load_b128 v[92:95], v99, s[12:15], null offen
	ds_load_b128 v[88:91], v120
	s_and_b32 s8, s2, s7
	s_wait_loadcnt 0x0
	s_wait_alu 0xfffe
	v_cndmask_b32_e64 v100, 0, v93, s8
	v_cndmask_b32_e64 v93, 0, v92, s8
	v_cmp_gt_i32_e64 s8, s30, v98
	v_lshlrev_b32_e32 v98, 1, v97
	s_delay_alu instid0(VALU_DEP_3) | instskip(SKIP_1) | instid1(VALU_DEP_1)
	v_cvt_f32_f16_e32 v92, v93
	s_and_b32 s9, vcc_lo, s8
	v_mul_f32_e32 v92, s29, v92
	s_wait_dscnt 0x0
	s_delay_alu instid0(VALU_DEP_1) | instskip(SKIP_2) | instid1(VALU_DEP_2)
	v_fma_mixlo_f16 v92, s28, v88, v92
	v_lshrrev_b32_e32 v88, 16, v93
	v_cvt_f32_f16_e32 v93, v100
	v_cvt_f32_f16_e32 v88, v88
	s_delay_alu instid0(VALU_DEP_1) | instskip(NEXT) | instid1(VALU_DEP_1)
	v_dual_mul_f32 v93, s29, v93 :: v_dual_mul_f32 v88, s29, v88
	v_fma_mixlo_f16 v93, s28, v90, v93
	v_lshrrev_b32_e32 v90, 16, v100
	s_delay_alu instid0(VALU_DEP_3) | instskip(SKIP_2) | instid1(VALU_DEP_3)
	v_fma_mixhi_f16 v92, s28, v89, v88
	s_wait_alu 0xfffe
	v_cndmask_b32_e64 v88, 0x80000000, 0, s9
	v_cvt_f32_f16_e32 v90, v90
	s_and_b32 s9, s0, s7
	s_wait_alu 0xfffe
	v_cndmask_b32_e64 v95, 0, v95, s9
	v_add_nc_u32_e32 v88, v98, v88
	v_mul_f32_e32 v90, s29, v90
	s_delay_alu instid0(VALU_DEP_1) | instskip(SKIP_4) | instid1(VALU_DEP_1)
	v_fma_mixhi_f16 v93, s28, v91, v90
	buffer_store_b64 v[92:93], v88, s[16:19], null offen
	ds_load_b128 v[88:91], v120 offset:16
	v_cndmask_b32_e64 v93, 0, v94, s9
	s_and_b32 s9, s1, s8
	v_cvt_f32_f16_e32 v92, v93
	s_delay_alu instid0(VALU_DEP_1) | instskip(SKIP_1) | instid1(VALU_DEP_1)
	v_mul_f32_e32 v92, s29, v92
	s_wait_dscnt 0x0
	v_fma_mixlo_f16 v92, s28, v88, v92
	v_lshrrev_b32_e32 v88, 16, v93
	v_cvt_f32_f16_e32 v93, v95
	s_delay_alu instid0(VALU_DEP_2) | instskip(NEXT) | instid1(VALU_DEP_1)
	v_cvt_f32_f16_e32 v88, v88
	v_dual_mul_f32 v93, s29, v93 :: v_dual_mul_f32 v88, s29, v88
	s_delay_alu instid0(VALU_DEP_1) | instskip(SKIP_1) | instid1(VALU_DEP_3)
	v_fma_mixlo_f16 v93, s28, v90, v93
	v_lshrrev_b32_e32 v90, 16, v95
	v_fma_mixhi_f16 v92, s28, v89, v88
	s_wait_alu 0xfffe
	v_cndmask_b32_e64 v88, 0x80000008, 8, s9
	s_delay_alu instid0(VALU_DEP_3)
	v_cvt_f32_f16_e32 v90, v90
	s_and_b32 s9, s6, s7
	v_add_nc_u32_e32 v89, 64, v97
	s_and_b32 s7, s3, s7
	v_add_nc_u32_e32 v88, v88, v98
	v_mul_f32_e32 v90, s29, v90
	s_delay_alu instid0(VALU_DEP_1)
	v_fma_mixhi_f16 v93, s28, v91, v90
	buffer_store_b64 v[92:93], v88, s[16:19], null offen
	v_add_nc_u32_e32 v88, 64, v96
	s_wait_dscnt 0x0
	s_barrier_signal -1
	s_barrier_wait -1
	ds_store_2addr_stride64_b32 v130, v80, v81 offset1:1
	ds_store_2addr_stride64_b32 v130, v82, v83 offset0:2 offset1:3
	ds_store_2addr_stride64_b32 v130, v84, v85 offset0:4 offset1:5
	;; [unrolled: 1-line block ×3, first 2 shown]
	v_lshlrev_b32_e32 v84, 1, v88
	s_wait_dscnt 0x0
	s_barrier_signal -1
	s_barrier_wait -1
	ds_load_b128 v[80:83], v120
	buffer_load_b64 v[84:85], v84, s[12:15], null offen
	s_wait_loadcnt 0x0
	v_cndmask_b32_e64 v86, 0, v85, s9
	v_cndmask_b32_e64 v85, 0, v84, s9
	s_and_b32 s9, s4, s8
	s_delay_alu instid0(VALU_DEP_1) | instskip(NEXT) | instid1(VALU_DEP_1)
	v_cvt_f32_f16_e32 v84, v85
	v_mul_f32_e32 v84, s29, v84
	s_wait_dscnt 0x0
	s_delay_alu instid0(VALU_DEP_1) | instskip(SKIP_2) | instid1(VALU_DEP_2)
	v_fma_mixlo_f16 v84, s28, v80, v84
	v_lshrrev_b32_e32 v80, 16, v85
	v_cvt_f32_f16_e32 v85, v86
	v_cvt_f32_f16_e32 v80, v80
	s_delay_alu instid0(VALU_DEP_1) | instskip(NEXT) | instid1(VALU_DEP_1)
	v_dual_mul_f32 v85, s29, v85 :: v_dual_mul_f32 v80, s29, v80
	v_fma_mixlo_f16 v85, s28, v82, v85
	v_lshrrev_b32_e32 v82, 16, v86
	s_delay_alu instid0(VALU_DEP_3) | instskip(SKIP_2) | instid1(VALU_DEP_3)
	v_fma_mixhi_f16 v84, s28, v81, v80
	s_wait_alu 0xfffe
	v_cndmask_b32_e64 v80, 0x80000000, 0, s9
	v_cvt_f32_f16_e32 v82, v82
	s_delay_alu instid0(VALU_DEP_2) | instskip(NEXT) | instid1(VALU_DEP_2)
	v_lshl_add_u32 v80, v89, 1, v80
	v_mul_f32_e32 v82, s29, v82
	s_delay_alu instid0(VALU_DEP_1)
	v_fma_mixhi_f16 v85, s28, v83, v82
	buffer_store_b64 v[84:85], v80, s[16:19], null offen
	buffer_load_b64 v[84:85], v99, s[12:15], null offen offset:136
	ds_load_b128 v[80:83], v120 offset:16
	s_wait_loadcnt 0x0
	v_cndmask_b32_e64 v86, 0, v85, s7
	v_cndmask_b32_e64 v85, 0, v84, s7
	s_and_b32 s7, s5, s8
	s_delay_alu instid0(VALU_DEP_1) | instskip(NEXT) | instid1(VALU_DEP_1)
	v_cvt_f32_f16_e32 v84, v85
	v_mul_f32_e32 v84, s29, v84
	s_wait_dscnt 0x0
	s_delay_alu instid0(VALU_DEP_1) | instskip(SKIP_2) | instid1(VALU_DEP_2)
	v_fma_mixlo_f16 v84, s28, v80, v84
	v_lshrrev_b32_e32 v80, 16, v85
	v_cvt_f32_f16_e32 v85, v86
	v_cvt_f32_f16_e32 v80, v80
	s_delay_alu instid0(VALU_DEP_1) | instskip(NEXT) | instid1(VALU_DEP_1)
	v_dual_mul_f32 v85, s29, v85 :: v_dual_mul_f32 v80, s29, v80
	v_fma_mixlo_f16 v85, s28, v82, v85
	v_lshrrev_b32_e32 v82, 16, v86
	s_delay_alu instid0(VALU_DEP_3) | instskip(SKIP_1) | instid1(VALU_DEP_3)
	v_fma_mixhi_f16 v84, s28, v81, v80
	v_mov_b32_e32 v80, 0x88
	v_cvt_f32_f16_e32 v82, v82
	s_wait_alu 0xfffe
	s_delay_alu instid0(VALU_DEP_2) | instskip(NEXT) | instid1(VALU_DEP_2)
	v_cndmask_b32_e64 v81, 0x80000088, v80, s7
	v_mul_f32_e32 v82, s29, v82
	s_delay_alu instid0(VALU_DEP_2) | instskip(NEXT) | instid1(VALU_DEP_2)
	v_add_nc_u32_e32 v81, v81, v98
	v_fma_mixhi_f16 v85, s28, v83, v82
	buffer_store_b64 v[84:85], v81, s[16:19], null offen
	s_wait_dscnt 0x0
	s_barrier_signal -1
	s_barrier_wait -1
	ds_store_2addr_stride64_b32 v130, v72, v73 offset1:1
	ds_store_2addr_stride64_b32 v130, v74, v75 offset0:2 offset1:3
	ds_store_2addr_stride64_b32 v130, v76, v77 offset0:4 offset1:5
	;; [unrolled: 1-line block ×3, first 2 shown]
	v_add_lshl_u32 v76, v88, s11, 1
	s_wait_dscnt 0x0
	s_barrier_signal -1
	s_barrier_wait -1
	v_or_b32_e32 v81, 0x60, v131
	buffer_load_b128 v[76:79], v76, s[12:15], null offen
	ds_load_b128 v[72:75], v120
	v_cmp_gt_i32_e64 s7, s31, v81
	s_and_b32 s8, s6, s7
	s_wait_loadcnt 0x0
	s_wait_alu 0xfffe
	v_cndmask_b32_e64 v82, 0, v77, s8
	v_cndmask_b32_e64 v77, 0, v76, s8
	v_cmp_gt_i32_e64 s8, s30, v81
	v_add_lshl_u32 v81, v89, s10, 1
	s_delay_alu instid0(VALU_DEP_3) | instskip(SKIP_1) | instid1(VALU_DEP_1)
	v_cvt_f32_f16_e32 v76, v77
	s_and_b32 s9, s4, s8
	v_mul_f32_e32 v76, s29, v76
	s_wait_dscnt 0x0
	s_delay_alu instid0(VALU_DEP_1) | instskip(SKIP_2) | instid1(VALU_DEP_2)
	v_fma_mixlo_f16 v76, s28, v72, v76
	v_lshrrev_b32_e32 v72, 16, v77
	v_cvt_f32_f16_e32 v77, v82
	v_cvt_f32_f16_e32 v72, v72
	s_delay_alu instid0(VALU_DEP_1) | instskip(NEXT) | instid1(VALU_DEP_1)
	v_dual_mul_f32 v77, s29, v77 :: v_dual_mul_f32 v72, s29, v72
	v_fma_mixlo_f16 v77, s28, v74, v77
	v_lshrrev_b32_e32 v74, 16, v82
	s_delay_alu instid0(VALU_DEP_3) | instskip(SKIP_2) | instid1(VALU_DEP_3)
	v_fma_mixhi_f16 v76, s28, v73, v72
	s_wait_alu 0xfffe
	v_cndmask_b32_e64 v72, 0x80000000, 0, s9
	v_cvt_f32_f16_e32 v74, v74
	s_and_b32 s9, s3, s7
	s_wait_alu 0xfffe
	v_cndmask_b32_e64 v79, 0, v79, s9
	v_add_nc_u32_e32 v72, v81, v72
	v_mul_f32_e32 v74, s29, v74
	s_delay_alu instid0(VALU_DEP_1) | instskip(SKIP_4) | instid1(VALU_DEP_1)
	v_fma_mixhi_f16 v77, s28, v75, v74
	buffer_store_b64 v[76:77], v72, s[16:19], null offen
	ds_load_b128 v[72:75], v120 offset:16
	v_cndmask_b32_e64 v77, 0, v78, s9
	s_and_b32 s9, s5, s8
	v_cvt_f32_f16_e32 v76, v77
	s_delay_alu instid0(VALU_DEP_1) | instskip(SKIP_1) | instid1(VALU_DEP_1)
	v_mul_f32_e32 v76, s29, v76
	s_wait_dscnt 0x0
	v_fma_mixlo_f16 v76, s28, v72, v76
	v_lshrrev_b32_e32 v72, 16, v77
	v_cvt_f32_f16_e32 v77, v79
	s_delay_alu instid0(VALU_DEP_2) | instskip(NEXT) | instid1(VALU_DEP_1)
	v_cvt_f32_f16_e32 v72, v72
	v_dual_mul_f32 v77, s29, v77 :: v_dual_mul_f32 v72, s29, v72
	s_delay_alu instid0(VALU_DEP_1) | instskip(SKIP_1) | instid1(VALU_DEP_3)
	v_fma_mixlo_f16 v77, s28, v74, v77
	v_lshrrev_b32_e32 v74, 16, v79
	v_fma_mixhi_f16 v76, s28, v73, v72
	s_wait_alu 0xfffe
	v_cndmask_b32_e64 v72, 0x80000008, 8, s9
	s_delay_alu instid0(VALU_DEP_3)
	v_cvt_f32_f16_e32 v74, v74
	s_and_b32 s9, s2, s7
	v_add_nc_u32_e32 v73, s10, v97
	s_and_b32 s7, s0, s7
	v_add_nc_u32_e32 v72, v72, v81
	v_mul_f32_e32 v74, s29, v74
	s_delay_alu instid0(VALU_DEP_1)
	v_fma_mixhi_f16 v77, s28, v75, v74
	buffer_store_b64 v[76:77], v72, s[16:19], null offen
	v_add_nc_u32_e32 v72, s11, v96
	s_wait_dscnt 0x0
	s_barrier_signal -1
	s_barrier_wait -1
	ds_store_2addr_stride64_b32 v130, v64, v65 offset1:1
	ds_store_2addr_stride64_b32 v130, v66, v67 offset0:2 offset1:3
	ds_store_2addr_stride64_b32 v130, v68, v69 offset0:4 offset1:5
	;; [unrolled: 1-line block ×3, first 2 shown]
	v_lshlrev_b32_e32 v68, 1, v72
	s_wait_dscnt 0x0
	s_barrier_signal -1
	s_barrier_wait -1
	ds_load_b128 v[64:67], v120
	buffer_load_b128 v[68:71], v68, s[12:15], null offen
	s_wait_loadcnt 0x0
	v_cndmask_b32_e64 v74, 0, v69, s9
	v_cndmask_b32_e64 v69, 0, v68, s9
	s_and_b32 s9, vcc_lo, s8
	v_cndmask_b32_e64 v71, 0, v71, s7
	s_delay_alu instid0(VALU_DEP_2) | instskip(NEXT) | instid1(VALU_DEP_1)
	v_cvt_f32_f16_e32 v68, v69
	v_mul_f32_e32 v68, s29, v68
	s_wait_dscnt 0x0
	s_delay_alu instid0(VALU_DEP_1) | instskip(SKIP_2) | instid1(VALU_DEP_2)
	v_fma_mixlo_f16 v68, s28, v64, v68
	v_lshrrev_b32_e32 v64, 16, v69
	v_cvt_f32_f16_e32 v69, v74
	v_cvt_f32_f16_e32 v64, v64
	s_delay_alu instid0(VALU_DEP_1) | instskip(NEXT) | instid1(VALU_DEP_1)
	v_dual_mul_f32 v69, s29, v69 :: v_dual_mul_f32 v64, s29, v64
	v_fma_mixlo_f16 v69, s28, v66, v69
	v_lshrrev_b32_e32 v66, 16, v74
	v_lshlrev_b32_e32 v74, 1, v73
	s_delay_alu instid0(VALU_DEP_4) | instskip(SKIP_3) | instid1(VALU_DEP_2)
	v_fma_mixhi_f16 v68, s28, v65, v64
	s_wait_alu 0xfffe
	v_cndmask_b32_e64 v64, 0x80000000, 0, s9
	v_cvt_f32_f16_e32 v66, v66
	v_add_nc_u32_e32 v64, v74, v64
	s_delay_alu instid0(VALU_DEP_2) | instskip(NEXT) | instid1(VALU_DEP_1)
	v_mul_f32_e32 v66, s29, v66
	v_fma_mixhi_f16 v69, s28, v67, v66
	buffer_store_b64 v[68:69], v64, s[16:19], null offen
	ds_load_b128 v[64:67], v120 offset:16
	v_cndmask_b32_e64 v69, 0, v70, s7
	s_and_b32 s7, s1, s8
	s_delay_alu instid0(VALU_DEP_1) | instskip(NEXT) | instid1(VALU_DEP_1)
	v_cvt_f32_f16_e32 v68, v69
	v_mul_f32_e32 v68, s29, v68
	s_wait_dscnt 0x0
	s_delay_alu instid0(VALU_DEP_1) | instskip(SKIP_2) | instid1(VALU_DEP_2)
	v_fma_mixlo_f16 v68, s28, v64, v68
	v_lshrrev_b32_e32 v64, 16, v69
	v_cvt_f32_f16_e32 v69, v71
	v_cvt_f32_f16_e32 v64, v64
	s_delay_alu instid0(VALU_DEP_1) | instskip(NEXT) | instid1(VALU_DEP_1)
	v_dual_mul_f32 v69, s29, v69 :: v_dual_mul_f32 v64, s29, v64
	v_fma_mixlo_f16 v69, s28, v66, v69
	v_lshrrev_b32_e32 v66, 16, v71
	s_delay_alu instid0(VALU_DEP_3) | instskip(SKIP_2) | instid1(VALU_DEP_3)
	v_fma_mixhi_f16 v68, s28, v65, v64
	s_wait_alu 0xfffe
	v_cndmask_b32_e64 v64, 0x80000008, 8, s7
	v_cvt_f32_f16_e32 v66, v66
	v_add_nc_u32_e32 v65, s10, v73
	s_delay_alu instid0(VALU_DEP_3) | instskip(NEXT) | instid1(VALU_DEP_3)
	v_add_nc_u32_e32 v64, v64, v74
	v_mul_f32_e32 v66, s29, v66
	s_delay_alu instid0(VALU_DEP_1)
	v_fma_mixhi_f16 v69, s28, v67, v66
	v_or_b32_e32 v66, 0x80, v131
	buffer_store_b64 v[68:69], v64, s[16:19], null offen
	v_add_nc_u32_e32 v64, s11, v72
	s_wait_dscnt 0x0
	s_barrier_signal -1
	s_barrier_wait -1
	ds_store_2addr_stride64_b32 v130, v56, v57 offset1:1
	ds_store_2addr_stride64_b32 v130, v58, v59 offset0:2 offset1:3
	ds_store_2addr_stride64_b32 v130, v60, v61 offset0:4 offset1:5
	;; [unrolled: 1-line block ×3, first 2 shown]
	v_lshlrev_b32_e32 v67, 1, v64
	s_wait_dscnt 0x0
	s_barrier_signal -1
	s_barrier_wait -1
	v_cmp_gt_i32_e64 s7, s31, v66
	buffer_load_b128 v[60:63], v67, s[12:15], null offen
	ds_load_b128 v[56:59], v120
	s_and_b32 s8, s2, s7
	s_wait_loadcnt 0x0
	s_wait_alu 0xfffe
	v_cndmask_b32_e64 v68, 0, v61, s8
	v_cndmask_b32_e64 v61, 0, v60, s8
	v_cmp_gt_i32_e64 s8, s30, v66
	v_lshlrev_b32_e32 v66, 1, v65
	s_delay_alu instid0(VALU_DEP_3) | instskip(SKIP_1) | instid1(VALU_DEP_1)
	v_cvt_f32_f16_e32 v60, v61
	s_and_b32 s9, vcc_lo, s8
	v_mul_f32_e32 v60, s29, v60
	s_wait_dscnt 0x0
	s_delay_alu instid0(VALU_DEP_1) | instskip(SKIP_2) | instid1(VALU_DEP_2)
	v_fma_mixlo_f16 v60, s28, v56, v60
	v_lshrrev_b32_e32 v56, 16, v61
	v_cvt_f32_f16_e32 v61, v68
	v_cvt_f32_f16_e32 v56, v56
	s_delay_alu instid0(VALU_DEP_1) | instskip(NEXT) | instid1(VALU_DEP_1)
	v_dual_mul_f32 v61, s29, v61 :: v_dual_mul_f32 v56, s29, v56
	v_fma_mixlo_f16 v61, s28, v58, v61
	v_lshrrev_b32_e32 v58, 16, v68
	s_delay_alu instid0(VALU_DEP_3) | instskip(SKIP_2) | instid1(VALU_DEP_3)
	v_fma_mixhi_f16 v60, s28, v57, v56
	s_wait_alu 0xfffe
	v_cndmask_b32_e64 v56, 0x80000000, 0, s9
	v_cvt_f32_f16_e32 v58, v58
	s_and_b32 s9, s0, s7
	s_wait_alu 0xfffe
	v_cndmask_b32_e64 v63, 0, v63, s9
	v_add_nc_u32_e32 v56, v66, v56
	v_mul_f32_e32 v58, s29, v58
	s_delay_alu instid0(VALU_DEP_1) | instskip(SKIP_4) | instid1(VALU_DEP_1)
	v_fma_mixhi_f16 v61, s28, v59, v58
	buffer_store_b64 v[60:61], v56, s[16:19], null offen
	ds_load_b128 v[56:59], v120 offset:16
	v_cndmask_b32_e64 v61, 0, v62, s9
	s_and_b32 s9, s1, s8
	v_cvt_f32_f16_e32 v60, v61
	s_delay_alu instid0(VALU_DEP_1) | instskip(SKIP_1) | instid1(VALU_DEP_1)
	v_mul_f32_e32 v60, s29, v60
	s_wait_dscnt 0x0
	v_fma_mixlo_f16 v60, s28, v56, v60
	v_lshrrev_b32_e32 v56, 16, v61
	v_cvt_f32_f16_e32 v61, v63
	s_delay_alu instid0(VALU_DEP_2) | instskip(NEXT) | instid1(VALU_DEP_1)
	v_cvt_f32_f16_e32 v56, v56
	v_dual_mul_f32 v61, s29, v61 :: v_dual_mul_f32 v56, s29, v56
	s_delay_alu instid0(VALU_DEP_1) | instskip(SKIP_1) | instid1(VALU_DEP_3)
	v_fma_mixlo_f16 v61, s28, v58, v61
	v_lshrrev_b32_e32 v58, 16, v63
	v_fma_mixhi_f16 v60, s28, v57, v56
	s_wait_alu 0xfffe
	v_cndmask_b32_e64 v56, 0x80000008, 8, s9
	s_delay_alu instid0(VALU_DEP_3)
	v_cvt_f32_f16_e32 v58, v58
	s_and_b32 s9, s6, s7
	v_add_nc_u32_e32 v57, 64, v65
	s_and_b32 s7, s3, s7
	v_add_nc_u32_e32 v56, v56, v66
	v_mul_f32_e32 v58, s29, v58
	s_delay_alu instid0(VALU_DEP_1)
	v_fma_mixhi_f16 v61, s28, v59, v58
	buffer_store_b64 v[60:61], v56, s[16:19], null offen
	v_add_nc_u32_e32 v56, 64, v64
	s_wait_dscnt 0x0
	s_barrier_signal -1
	s_barrier_wait -1
	ds_store_2addr_stride64_b32 v130, v48, v49 offset1:1
	ds_store_2addr_stride64_b32 v130, v50, v51 offset0:2 offset1:3
	ds_store_2addr_stride64_b32 v130, v52, v53 offset0:4 offset1:5
	ds_store_2addr_stride64_b32 v130, v54, v55 offset0:6 offset1:7
	v_lshlrev_b32_e32 v52, 1, v56
	s_wait_dscnt 0x0
	s_barrier_signal -1
	s_barrier_wait -1
	ds_load_b128 v[48:51], v120
	buffer_load_b64 v[52:53], v52, s[12:15], null offen
	s_wait_loadcnt 0x0
	v_cndmask_b32_e64 v54, 0, v53, s9
	v_cndmask_b32_e64 v53, 0, v52, s9
	s_and_b32 s9, s4, s8
	s_delay_alu instid0(VALU_DEP_1) | instskip(NEXT) | instid1(VALU_DEP_1)
	v_cvt_f32_f16_e32 v52, v53
	v_mul_f32_e32 v52, s29, v52
	s_wait_dscnt 0x0
	s_delay_alu instid0(VALU_DEP_1) | instskip(SKIP_2) | instid1(VALU_DEP_2)
	v_fma_mixlo_f16 v52, s28, v48, v52
	v_lshrrev_b32_e32 v48, 16, v53
	v_cvt_f32_f16_e32 v53, v54
	v_cvt_f32_f16_e32 v48, v48
	s_delay_alu instid0(VALU_DEP_1) | instskip(NEXT) | instid1(VALU_DEP_1)
	v_dual_mul_f32 v53, s29, v53 :: v_dual_mul_f32 v48, s29, v48
	v_fma_mixlo_f16 v53, s28, v50, v53
	v_lshrrev_b32_e32 v50, 16, v54
	s_delay_alu instid0(VALU_DEP_3) | instskip(SKIP_2) | instid1(VALU_DEP_3)
	v_fma_mixhi_f16 v52, s28, v49, v48
	s_wait_alu 0xfffe
	v_cndmask_b32_e64 v48, 0x80000000, 0, s9
	v_cvt_f32_f16_e32 v50, v50
	s_delay_alu instid0(VALU_DEP_2) | instskip(NEXT) | instid1(VALU_DEP_2)
	v_lshl_add_u32 v48, v57, 1, v48
	v_mul_f32_e32 v50, s29, v50
	s_delay_alu instid0(VALU_DEP_1)
	v_fma_mixhi_f16 v53, s28, v51, v50
	buffer_store_b64 v[52:53], v48, s[16:19], null offen
	buffer_load_b64 v[52:53], v67, s[12:15], null offen offset:136
	ds_load_b128 v[48:51], v120 offset:16
	s_wait_loadcnt 0x0
	v_cndmask_b32_e64 v54, 0, v53, s7
	v_cndmask_b32_e64 v53, 0, v52, s7
	s_and_b32 s7, s5, s8
	s_delay_alu instid0(VALU_DEP_1) | instskip(NEXT) | instid1(VALU_DEP_1)
	v_cvt_f32_f16_e32 v52, v53
	v_mul_f32_e32 v52, s29, v52
	s_wait_dscnt 0x0
	s_delay_alu instid0(VALU_DEP_1) | instskip(SKIP_2) | instid1(VALU_DEP_2)
	v_fma_mixlo_f16 v52, s28, v48, v52
	v_lshrrev_b32_e32 v48, 16, v53
	v_cvt_f32_f16_e32 v53, v54
	v_cvt_f32_f16_e32 v48, v48
	s_delay_alu instid0(VALU_DEP_1) | instskip(NEXT) | instid1(VALU_DEP_1)
	v_dual_mul_f32 v53, s29, v53 :: v_dual_mul_f32 v48, s29, v48
	v_fma_mixlo_f16 v53, s28, v50, v53
	v_lshrrev_b32_e32 v50, 16, v54
	s_delay_alu instid0(VALU_DEP_3) | instskip(SKIP_2) | instid1(VALU_DEP_3)
	v_fma_mixhi_f16 v52, s28, v49, v48
	s_wait_alu 0xfffe
	v_cndmask_b32_e64 v48, 0x80000088, v80, s7
	v_cvt_f32_f16_e32 v50, v50
	s_delay_alu instid0(VALU_DEP_2) | instskip(NEXT) | instid1(VALU_DEP_2)
	v_add_nc_u32_e32 v48, v48, v66
	v_mul_f32_e32 v50, s29, v50
	s_delay_alu instid0(VALU_DEP_1)
	v_fma_mixhi_f16 v53, s28, v51, v50
	buffer_store_b64 v[52:53], v48, s[16:19], null offen
	s_wait_dscnt 0x0
	s_barrier_signal -1
	s_barrier_wait -1
	ds_store_2addr_stride64_b32 v130, v40, v41 offset1:1
	ds_store_2addr_stride64_b32 v130, v42, v43 offset0:2 offset1:3
	ds_store_2addr_stride64_b32 v130, v44, v45 offset0:4 offset1:5
	;; [unrolled: 1-line block ×3, first 2 shown]
	v_add_lshl_u32 v44, v56, s11, 1
	s_wait_dscnt 0x0
	s_barrier_signal -1
	s_barrier_wait -1
	v_or_b32_e32 v48, 0xa0, v131
	buffer_load_b128 v[44:47], v44, s[12:15], null offen
	ds_load_b128 v[40:43], v120
	v_cmp_gt_i32_e64 s7, s31, v48
	s_and_b32 s8, s6, s7
	s_wait_loadcnt 0x0
	s_wait_alu 0xfffe
	v_cndmask_b32_e64 v49, 0, v45, s8
	v_cndmask_b32_e64 v45, 0, v44, s8
	v_cmp_gt_i32_e64 s8, s30, v48
	v_add_lshl_u32 v48, v57, s10, 1
	s_delay_alu instid0(VALU_DEP_3) | instskip(SKIP_1) | instid1(VALU_DEP_1)
	v_cvt_f32_f16_e32 v44, v45
	s_and_b32 s9, s4, s8
	v_mul_f32_e32 v44, s29, v44
	s_wait_dscnt 0x0
	s_delay_alu instid0(VALU_DEP_1) | instskip(SKIP_2) | instid1(VALU_DEP_2)
	v_fma_mixlo_f16 v44, s28, v40, v44
	v_lshrrev_b32_e32 v40, 16, v45
	v_cvt_f32_f16_e32 v45, v49
	v_cvt_f32_f16_e32 v40, v40
	s_delay_alu instid0(VALU_DEP_1) | instskip(NEXT) | instid1(VALU_DEP_1)
	v_dual_mul_f32 v45, s29, v45 :: v_dual_mul_f32 v40, s29, v40
	v_fma_mixlo_f16 v45, s28, v42, v45
	v_lshrrev_b32_e32 v42, 16, v49
	s_delay_alu instid0(VALU_DEP_3) | instskip(SKIP_2) | instid1(VALU_DEP_3)
	v_fma_mixhi_f16 v44, s28, v41, v40
	s_wait_alu 0xfffe
	v_cndmask_b32_e64 v40, 0x80000000, 0, s9
	v_cvt_f32_f16_e32 v42, v42
	s_and_b32 s9, s3, s7
	s_wait_alu 0xfffe
	v_cndmask_b32_e64 v47, 0, v47, s9
	v_add_nc_u32_e32 v40, v48, v40
	v_mul_f32_e32 v42, s29, v42
	s_delay_alu instid0(VALU_DEP_1) | instskip(SKIP_4) | instid1(VALU_DEP_1)
	v_fma_mixhi_f16 v45, s28, v43, v42
	buffer_store_b64 v[44:45], v40, s[16:19], null offen
	ds_load_b128 v[40:43], v120 offset:16
	v_cndmask_b32_e64 v45, 0, v46, s9
	s_and_b32 s9, s5, s8
	v_cvt_f32_f16_e32 v44, v45
	s_delay_alu instid0(VALU_DEP_1) | instskip(SKIP_1) | instid1(VALU_DEP_1)
	v_mul_f32_e32 v44, s29, v44
	s_wait_dscnt 0x0
	v_fma_mixlo_f16 v44, s28, v40, v44
	v_lshrrev_b32_e32 v40, 16, v45
	v_cvt_f32_f16_e32 v45, v47
	s_delay_alu instid0(VALU_DEP_2) | instskip(NEXT) | instid1(VALU_DEP_1)
	v_cvt_f32_f16_e32 v40, v40
	v_dual_mul_f32 v45, s29, v45 :: v_dual_mul_f32 v40, s29, v40
	s_delay_alu instid0(VALU_DEP_1) | instskip(SKIP_1) | instid1(VALU_DEP_3)
	v_fma_mixlo_f16 v45, s28, v42, v45
	v_lshrrev_b32_e32 v42, 16, v47
	v_fma_mixhi_f16 v44, s28, v41, v40
	s_wait_alu 0xfffe
	v_cndmask_b32_e64 v40, 0x80000008, 8, s9
	s_delay_alu instid0(VALU_DEP_3)
	v_cvt_f32_f16_e32 v42, v42
	s_and_b32 s9, s2, s7
	v_add_nc_u32_e32 v41, s10, v65
	s_and_b32 s7, s0, s7
	v_add_nc_u32_e32 v40, v40, v48
	v_mul_f32_e32 v42, s29, v42
	s_delay_alu instid0(VALU_DEP_1)
	v_fma_mixhi_f16 v45, s28, v43, v42
	buffer_store_b64 v[44:45], v40, s[16:19], null offen
	v_add_nc_u32_e32 v40, s11, v64
	s_wait_dscnt 0x0
	s_barrier_signal -1
	s_barrier_wait -1
	ds_store_2addr_stride64_b32 v130, v32, v33 offset1:1
	ds_store_2addr_stride64_b32 v130, v34, v35 offset0:2 offset1:3
	ds_store_2addr_stride64_b32 v130, v36, v37 offset0:4 offset1:5
	;; [unrolled: 1-line block ×3, first 2 shown]
	v_lshlrev_b32_e32 v36, 1, v40
	s_wait_dscnt 0x0
	s_barrier_signal -1
	s_barrier_wait -1
	ds_load_b128 v[32:35], v120
	buffer_load_b128 v[36:39], v36, s[12:15], null offen
	s_wait_loadcnt 0x0
	v_cndmask_b32_e64 v42, 0, v37, s9
	v_cndmask_b32_e64 v37, 0, v36, s9
	s_and_b32 s9, vcc_lo, s8
	v_cndmask_b32_e64 v39, 0, v39, s7
	s_delay_alu instid0(VALU_DEP_2) | instskip(NEXT) | instid1(VALU_DEP_1)
	v_cvt_f32_f16_e32 v36, v37
	v_mul_f32_e32 v36, s29, v36
	s_wait_dscnt 0x0
	s_delay_alu instid0(VALU_DEP_1) | instskip(SKIP_2) | instid1(VALU_DEP_2)
	v_fma_mixlo_f16 v36, s28, v32, v36
	v_lshrrev_b32_e32 v32, 16, v37
	v_cvt_f32_f16_e32 v37, v42
	v_cvt_f32_f16_e32 v32, v32
	s_delay_alu instid0(VALU_DEP_1) | instskip(NEXT) | instid1(VALU_DEP_1)
	v_dual_mul_f32 v37, s29, v37 :: v_dual_mul_f32 v32, s29, v32
	v_fma_mixlo_f16 v37, s28, v34, v37
	v_lshrrev_b32_e32 v34, 16, v42
	v_lshlrev_b32_e32 v42, 1, v41
	s_delay_alu instid0(VALU_DEP_4) | instskip(SKIP_3) | instid1(VALU_DEP_2)
	v_fma_mixhi_f16 v36, s28, v33, v32
	s_wait_alu 0xfffe
	v_cndmask_b32_e64 v32, 0x80000000, 0, s9
	v_cvt_f32_f16_e32 v34, v34
	v_add_nc_u32_e32 v32, v42, v32
	s_delay_alu instid0(VALU_DEP_2) | instskip(NEXT) | instid1(VALU_DEP_1)
	v_mul_f32_e32 v34, s29, v34
	v_fma_mixhi_f16 v37, s28, v35, v34
	buffer_store_b64 v[36:37], v32, s[16:19], null offen
	ds_load_b128 v[32:35], v120 offset:16
	v_cndmask_b32_e64 v37, 0, v38, s7
	s_and_b32 s7, s1, s8
	s_delay_alu instid0(VALU_DEP_1) | instskip(NEXT) | instid1(VALU_DEP_1)
	v_cvt_f32_f16_e32 v36, v37
	v_mul_f32_e32 v36, s29, v36
	s_wait_dscnt 0x0
	s_delay_alu instid0(VALU_DEP_1) | instskip(SKIP_2) | instid1(VALU_DEP_2)
	v_fma_mixlo_f16 v36, s28, v32, v36
	v_lshrrev_b32_e32 v32, 16, v37
	v_cvt_f32_f16_e32 v37, v39
	v_cvt_f32_f16_e32 v32, v32
	s_delay_alu instid0(VALU_DEP_1) | instskip(NEXT) | instid1(VALU_DEP_1)
	v_dual_mul_f32 v37, s29, v37 :: v_dual_mul_f32 v32, s29, v32
	v_fma_mixlo_f16 v37, s28, v34, v37
	v_lshrrev_b32_e32 v34, 16, v39
	s_delay_alu instid0(VALU_DEP_3) | instskip(SKIP_2) | instid1(VALU_DEP_3)
	v_fma_mixhi_f16 v36, s28, v33, v32
	s_wait_alu 0xfffe
	v_cndmask_b32_e64 v32, 0x80000008, 8, s7
	v_cvt_f32_f16_e32 v34, v34
	v_add_nc_u32_e32 v33, s11, v40
	s_delay_alu instid0(VALU_DEP_3) | instskip(NEXT) | instid1(VALU_DEP_3)
	v_add_nc_u32_e32 v32, v32, v42
	v_mul_f32_e32 v34, s29, v34
	s_delay_alu instid0(VALU_DEP_1) | instskip(NEXT) | instid1(VALU_DEP_4)
	v_fma_mixhi_f16 v37, s28, v35, v34
	v_lshlrev_b32_e32 v35, 1, v33
	v_or_b32_e32 v34, 0xc0, v131
	buffer_store_b64 v[36:37], v32, s[16:19], null offen
	s_wait_dscnt 0x0
	s_barrier_signal -1
	s_barrier_wait -1
	ds_store_2addr_stride64_b32 v130, v24, v25 offset1:1
	ds_store_2addr_stride64_b32 v130, v26, v27 offset0:2 offset1:3
	ds_store_2addr_stride64_b32 v130, v28, v29 offset0:4 offset1:5
	;; [unrolled: 1-line block ×3, first 2 shown]
	s_wait_dscnt 0x0
	s_barrier_signal -1
	s_barrier_wait -1
	buffer_load_b128 v[28:31], v35, s[12:15], null offen
	v_cmp_gt_i32_e64 s7, s31, v34
	ds_load_b128 v[24:27], v120
	v_add_nc_u32_e32 v32, s10, v41
	s_and_b32 s8, s2, s7
	s_wait_loadcnt 0x0
	s_wait_alu 0xfffe
	v_cndmask_b32_e64 v36, 0, v29, s8
	v_cndmask_b32_e64 v29, 0, v28, s8
	v_cmp_gt_i32_e64 s8, s30, v34
	v_lshlrev_b32_e32 v34, 1, v32
	s_delay_alu instid0(VALU_DEP_3) | instskip(SKIP_1) | instid1(VALU_DEP_1)
	v_cvt_f32_f16_e32 v28, v29
	s_and_b32 s9, vcc_lo, s8
	v_mul_f32_e32 v28, s29, v28
	s_wait_dscnt 0x0
	s_delay_alu instid0(VALU_DEP_1) | instskip(SKIP_2) | instid1(VALU_DEP_2)
	v_fma_mixlo_f16 v28, s28, v24, v28
	v_lshrrev_b32_e32 v24, 16, v29
	v_cvt_f32_f16_e32 v29, v36
	v_cvt_f32_f16_e32 v24, v24
	s_delay_alu instid0(VALU_DEP_1) | instskip(NEXT) | instid1(VALU_DEP_1)
	v_dual_mul_f32 v29, s29, v29 :: v_dual_mul_f32 v24, s29, v24
	v_fma_mixlo_f16 v29, s28, v26, v29
	v_lshrrev_b32_e32 v26, 16, v36
	s_delay_alu instid0(VALU_DEP_3) | instskip(SKIP_2) | instid1(VALU_DEP_3)
	v_fma_mixhi_f16 v28, s28, v25, v24
	s_wait_alu 0xfffe
	v_cndmask_b32_e64 v24, 0x80000000, 0, s9
	v_cvt_f32_f16_e32 v26, v26
	s_and_b32 s9, s0, s7
	s_wait_alu 0xfffe
	v_cndmask_b32_e64 v31, 0, v31, s9
	v_add_nc_u32_e32 v24, v34, v24
	v_mul_f32_e32 v26, s29, v26
	s_delay_alu instid0(VALU_DEP_1) | instskip(SKIP_4) | instid1(VALU_DEP_1)
	v_fma_mixhi_f16 v29, s28, v27, v26
	buffer_store_b64 v[28:29], v24, s[16:19], null offen
	ds_load_b128 v[24:27], v120 offset:16
	v_cndmask_b32_e64 v29, 0, v30, s9
	s_and_b32 s9, s1, s8
	v_cvt_f32_f16_e32 v28, v29
	s_delay_alu instid0(VALU_DEP_1) | instskip(SKIP_1) | instid1(VALU_DEP_1)
	v_mul_f32_e32 v28, s29, v28
	s_wait_dscnt 0x0
	v_fma_mixlo_f16 v28, s28, v24, v28
	v_lshrrev_b32_e32 v24, 16, v29
	v_cvt_f32_f16_e32 v29, v31
	s_delay_alu instid0(VALU_DEP_2) | instskip(NEXT) | instid1(VALU_DEP_1)
	v_cvt_f32_f16_e32 v24, v24
	v_dual_mul_f32 v29, s29, v29 :: v_dual_mul_f32 v24, s29, v24
	s_delay_alu instid0(VALU_DEP_1) | instskip(SKIP_1) | instid1(VALU_DEP_3)
	v_fma_mixlo_f16 v29, s28, v26, v29
	v_lshrrev_b32_e32 v26, 16, v31
	v_fma_mixhi_f16 v28, s28, v25, v24
	s_wait_alu 0xfffe
	v_cndmask_b32_e64 v24, 0x80000008, 8, s9
	s_delay_alu instid0(VALU_DEP_3)
	v_cvt_f32_f16_e32 v26, v26
	s_and_b32 s9, s6, s7
	v_add_nc_u32_e32 v25, 64, v32
	s_and_b32 s7, s3, s7
	v_add_nc_u32_e32 v24, v24, v34
	v_mul_f32_e32 v26, s29, v26
	s_delay_alu instid0(VALU_DEP_1)
	v_fma_mixhi_f16 v29, s28, v27, v26
	buffer_store_b64 v[28:29], v24, s[16:19], null offen
	v_add_nc_u32_e32 v24, 64, v33
	s_wait_dscnt 0x0
	s_barrier_signal -1
	s_barrier_wait -1
	ds_store_2addr_stride64_b32 v130, v16, v17 offset1:1
	ds_store_2addr_stride64_b32 v130, v18, v19 offset0:2 offset1:3
	ds_store_2addr_stride64_b32 v130, v20, v21 offset0:4 offset1:5
	;; [unrolled: 1-line block ×3, first 2 shown]
	v_lshlrev_b32_e32 v20, 1, v24
	s_wait_dscnt 0x0
	s_barrier_signal -1
	s_barrier_wait -1
	ds_load_b128 v[16:19], v120
	buffer_load_b64 v[20:21], v20, s[12:15], null offen
	s_wait_loadcnt 0x0
	v_cndmask_b32_e64 v22, 0, v21, s9
	v_cndmask_b32_e64 v21, 0, v20, s9
	s_and_b32 s9, s4, s8
	s_delay_alu instid0(VALU_DEP_1) | instskip(NEXT) | instid1(VALU_DEP_1)
	v_cvt_f32_f16_e32 v20, v21
	v_mul_f32_e32 v20, s29, v20
	s_wait_dscnt 0x0
	s_delay_alu instid0(VALU_DEP_1) | instskip(SKIP_2) | instid1(VALU_DEP_2)
	v_fma_mixlo_f16 v20, s28, v16, v20
	v_lshrrev_b32_e32 v16, 16, v21
	v_cvt_f32_f16_e32 v21, v22
	v_cvt_f32_f16_e32 v16, v16
	s_delay_alu instid0(VALU_DEP_1) | instskip(NEXT) | instid1(VALU_DEP_1)
	v_dual_mul_f32 v21, s29, v21 :: v_dual_mul_f32 v16, s29, v16
	v_fma_mixlo_f16 v21, s28, v18, v21
	v_lshrrev_b32_e32 v18, 16, v22
	s_delay_alu instid0(VALU_DEP_3) | instskip(SKIP_2) | instid1(VALU_DEP_3)
	v_fma_mixhi_f16 v20, s28, v17, v16
	s_wait_alu 0xfffe
	v_cndmask_b32_e64 v16, 0x80000000, 0, s9
	v_cvt_f32_f16_e32 v18, v18
	s_delay_alu instid0(VALU_DEP_2) | instskip(NEXT) | instid1(VALU_DEP_2)
	v_lshl_add_u32 v16, v25, 1, v16
	v_mul_f32_e32 v18, s29, v18
	s_delay_alu instid0(VALU_DEP_1)
	v_fma_mixhi_f16 v21, s28, v19, v18
	buffer_store_b64 v[20:21], v16, s[16:19], null offen
	buffer_load_b64 v[20:21], v35, s[12:15], null offen offset:136
	ds_load_b128 v[16:19], v120 offset:16
	s_wait_loadcnt 0x0
	v_cndmask_b32_e64 v22, 0, v21, s7
	v_cndmask_b32_e64 v21, 0, v20, s7
	s_and_b32 s7, s5, s8
	s_delay_alu instid0(VALU_DEP_1) | instskip(NEXT) | instid1(VALU_DEP_1)
	v_cvt_f32_f16_e32 v20, v21
	v_mul_f32_e32 v20, s29, v20
	s_wait_dscnt 0x0
	s_delay_alu instid0(VALU_DEP_1) | instskip(SKIP_2) | instid1(VALU_DEP_2)
	v_fma_mixlo_f16 v20, s28, v16, v20
	v_lshrrev_b32_e32 v16, 16, v21
	v_cvt_f32_f16_e32 v21, v22
	v_cvt_f32_f16_e32 v16, v16
	s_delay_alu instid0(VALU_DEP_1) | instskip(NEXT) | instid1(VALU_DEP_1)
	v_dual_mul_f32 v21, s29, v21 :: v_dual_mul_f32 v16, s29, v16
	v_fma_mixlo_f16 v21, s28, v18, v21
	v_lshrrev_b32_e32 v18, 16, v22
	s_delay_alu instid0(VALU_DEP_3) | instskip(SKIP_2) | instid1(VALU_DEP_3)
	v_fma_mixhi_f16 v20, s28, v17, v16
	s_wait_alu 0xfffe
	v_cndmask_b32_e64 v16, 0x80000088, v80, s7
	v_cvt_f32_f16_e32 v18, v18
	s_delay_alu instid0(VALU_DEP_2) | instskip(NEXT) | instid1(VALU_DEP_2)
	v_add_nc_u32_e32 v16, v16, v34
	v_mul_f32_e32 v18, s29, v18
	s_delay_alu instid0(VALU_DEP_1)
	v_fma_mixhi_f16 v21, s28, v19, v18
	buffer_store_b64 v[20:21], v16, s[16:19], null offen
	s_wait_dscnt 0x0
	s_barrier_signal -1
	s_barrier_wait -1
	ds_store_2addr_stride64_b32 v130, v8, v9 offset1:1
	ds_store_2addr_stride64_b32 v130, v10, v11 offset0:2 offset1:3
	ds_store_2addr_stride64_b32 v130, v12, v13 offset0:4 offset1:5
	;; [unrolled: 1-line block ×3, first 2 shown]
	v_add_lshl_u32 v12, v24, s11, 1
	s_wait_dscnt 0x0
	s_barrier_signal -1
	s_barrier_wait -1
	v_or_b32_e32 v16, 0xe0, v131
	buffer_load_b128 v[12:15], v12, s[12:15], null offen
	ds_load_b128 v[8:11], v120
	v_cmp_gt_i32_e64 s7, s31, v16
	s_and_b32 s6, s6, s7
	s_and_b32 s3, s3, s7
	;; [unrolled: 1-line block ×3, first 2 shown]
	s_wait_loadcnt 0x0
	s_wait_alu 0xfffe
	v_cndmask_b32_e64 v17, 0, v13, s6
	v_cndmask_b32_e64 v13, 0, v12, s6
	v_cmp_gt_i32_e64 s6, s30, v16
	v_add_lshl_u32 v16, v25, s10, 1
	v_cndmask_b32_e64 v15, 0, v15, s3
	s_delay_alu instid0(VALU_DEP_4) | instskip(SKIP_1) | instid1(VALU_DEP_1)
	v_cvt_f32_f16_e32 v12, v13
	s_and_b32 s4, s4, s6
	v_mul_f32_e32 v12, s29, v12
	s_wait_dscnt 0x0
	s_delay_alu instid0(VALU_DEP_1) | instskip(SKIP_2) | instid1(VALU_DEP_2)
	v_fma_mixlo_f16 v12, s28, v8, v12
	v_lshrrev_b32_e32 v8, 16, v13
	v_cvt_f32_f16_e32 v13, v17
	v_cvt_f32_f16_e32 v8, v8
	s_delay_alu instid0(VALU_DEP_1) | instskip(NEXT) | instid1(VALU_DEP_1)
	v_dual_mul_f32 v13, s29, v13 :: v_dual_mul_f32 v8, s29, v8
	v_fma_mixlo_f16 v13, s28, v10, v13
	v_lshrrev_b32_e32 v10, 16, v17
	s_delay_alu instid0(VALU_DEP_3) | instskip(SKIP_2) | instid1(VALU_DEP_3)
	v_fma_mixhi_f16 v12, s28, v9, v8
	s_wait_alu 0xfffe
	v_cndmask_b32_e64 v8, 0x80000000, 0, s4
	v_cvt_f32_f16_e32 v10, v10
	s_delay_alu instid0(VALU_DEP_2) | instskip(NEXT) | instid1(VALU_DEP_2)
	v_add_nc_u32_e32 v8, v16, v8
	v_mul_f32_e32 v10, s29, v10
	s_delay_alu instid0(VALU_DEP_1) | instskip(SKIP_4) | instid1(VALU_DEP_1)
	v_fma_mixhi_f16 v13, s28, v11, v10
	buffer_store_b64 v[12:13], v8, s[16:19], null offen
	ds_load_b128 v[8:11], v120 offset:16
	v_cndmask_b32_e64 v13, 0, v14, s3
	s_and_b32 s3, s5, s6
	v_cvt_f32_f16_e32 v12, v13
	s_delay_alu instid0(VALU_DEP_1) | instskip(SKIP_1) | instid1(VALU_DEP_1)
	v_mul_f32_e32 v12, s29, v12
	s_wait_dscnt 0x0
	v_fma_mixlo_f16 v12, s28, v8, v12
	v_lshrrev_b32_e32 v8, 16, v13
	v_cvt_f32_f16_e32 v13, v15
	s_delay_alu instid0(VALU_DEP_2) | instskip(NEXT) | instid1(VALU_DEP_1)
	v_cvt_f32_f16_e32 v8, v8
	v_dual_mul_f32 v13, s29, v13 :: v_dual_mul_f32 v8, s29, v8
	s_delay_alu instid0(VALU_DEP_1) | instskip(SKIP_1) | instid1(VALU_DEP_3)
	v_fma_mixlo_f16 v13, s28, v10, v13
	v_lshrrev_b32_e32 v10, 16, v15
	v_fma_mixhi_f16 v12, s28, v9, v8
	s_wait_alu 0xfffe
	v_cndmask_b32_e64 v8, 0x80000008, 8, s3
	s_delay_alu instid0(VALU_DEP_3) | instskip(NEXT) | instid1(VALU_DEP_2)
	v_cvt_f32_f16_e32 v10, v10
	v_add_nc_u32_e32 v8, v8, v16
	s_delay_alu instid0(VALU_DEP_2) | instskip(NEXT) | instid1(VALU_DEP_1)
	v_mul_f32_e32 v10, s29, v10
	v_fma_mixhi_f16 v13, s28, v11, v10
	buffer_store_b64 v[12:13], v8, s[16:19], null offen
	s_wait_dscnt 0x0
	s_barrier_signal -1
	s_barrier_wait -1
	ds_store_2addr_stride64_b32 v130, v0, v1 offset1:1
	ds_store_2addr_stride64_b32 v130, v2, v3 offset0:2 offset1:3
	ds_store_2addr_stride64_b32 v130, v4, v5 offset0:4 offset1:5
	;; [unrolled: 1-line block ×3, first 2 shown]
	v_add_lshl_u32 v4, v33, s11, 1
	s_wait_dscnt 0x0
	s_barrier_signal -1
	s_barrier_wait -1
	ds_load_b128 v[0:3], v120
	buffer_load_b128 v[4:7], v4, s[12:15], null offen
	s_wait_loadcnt 0x0
	v_cndmask_b32_e64 v8, 0, v5, s2
	v_cndmask_b32_e64 v5, 0, v4, s2
	s_and_b32 s2, vcc_lo, s6
	s_and_b32 vcc_lo, s0, s7
	s_and_b32 s0, s1, s6
	s_wait_alu 0xfffe
	v_cndmask_b32_e32 v7, 0, v7, vcc_lo
	v_cvt_f32_f16_e32 v4, v5
	s_delay_alu instid0(VALU_DEP_1) | instskip(SKIP_1) | instid1(VALU_DEP_1)
	v_mul_f32_e32 v4, s29, v4
	s_wait_dscnt 0x0
	v_fma_mixlo_f16 v4, s28, v0, v4
	v_lshrrev_b32_e32 v0, 16, v5
	v_cvt_f32_f16_e32 v5, v8
	s_delay_alu instid0(VALU_DEP_2) | instskip(NEXT) | instid1(VALU_DEP_1)
	v_cvt_f32_f16_e32 v0, v0
	v_dual_mul_f32 v5, s29, v5 :: v_dual_mul_f32 v0, s29, v0
	s_delay_alu instid0(VALU_DEP_1) | instskip(SKIP_2) | instid1(VALU_DEP_4)
	v_fma_mixlo_f16 v5, s28, v2, v5
	v_lshrrev_b32_e32 v2, 16, v8
	v_add_lshl_u32 v8, v32, s10, 1
	v_fma_mixhi_f16 v4, s28, v1, v0
	v_cndmask_b32_e64 v0, 0x80000000, 0, s2
	s_delay_alu instid0(VALU_DEP_4) | instskip(NEXT) | instid1(VALU_DEP_2)
	v_cvt_f32_f16_e32 v2, v2
	v_add_nc_u32_e32 v0, v8, v0
	s_delay_alu instid0(VALU_DEP_2) | instskip(NEXT) | instid1(VALU_DEP_1)
	v_mul_f32_e32 v2, s29, v2
	v_fma_mixhi_f16 v5, s28, v3, v2
	buffer_store_b64 v[4:5], v0, s[16:19], null offen
	ds_load_b128 v[0:3], v120 offset:16
	v_cndmask_b32_e32 v5, 0, v6, vcc_lo
	s_delay_alu instid0(VALU_DEP_1) | instskip(NEXT) | instid1(VALU_DEP_1)
	v_cvt_f32_f16_e32 v4, v5
	v_mul_f32_e32 v4, s29, v4
	s_wait_dscnt 0x0
	s_delay_alu instid0(VALU_DEP_1) | instskip(SKIP_2) | instid1(VALU_DEP_2)
	v_fma_mixlo_f16 v4, s28, v0, v4
	v_lshrrev_b32_e32 v0, 16, v5
	v_cvt_f32_f16_e32 v5, v7
	v_cvt_f32_f16_e32 v0, v0
	s_delay_alu instid0(VALU_DEP_1) | instskip(NEXT) | instid1(VALU_DEP_1)
	v_dual_mul_f32 v5, s29, v5 :: v_dual_mul_f32 v0, s29, v0
	v_fma_mixlo_f16 v5, s28, v2, v5
	v_lshrrev_b32_e32 v2, 16, v7
	s_delay_alu instid0(VALU_DEP_3) | instskip(SKIP_1) | instid1(VALU_DEP_3)
	v_fma_mixhi_f16 v4, s28, v1, v0
	v_cndmask_b32_e64 v0, 0x80000008, 8, s0
	v_cvt_f32_f16_e32 v2, v2
	s_delay_alu instid0(VALU_DEP_2) | instskip(NEXT) | instid1(VALU_DEP_2)
	v_add_nc_u32_e32 v0, v0, v8
	v_mul_f32_e32 v2, s29, v2
	s_delay_alu instid0(VALU_DEP_1)
	v_fma_mixhi_f16 v5, s28, v3, v2
	buffer_store_b64 v[4:5], v0, s[16:19], null offen
	s_nop 0
	s_sendmsg sendmsg(MSG_DEALLOC_VGPRS)
	s_endpgm
	.section	.rodata,"a",@progbits
	.p2align	6, 0x0
	.amdhsa_kernel _ZN2ck35kernel_gemm_multiple_d_xdl_cshuffleINS_34GridwiseGemmMultipleD_xdl_cshuffleIDF16_DF16_DF16_ffNS_5TupleIJDF16_EEEDF16_NS_16tensor_operation12element_wise11PassThroughES6_12AlphaBetaAddLi1ELi256ELi256ELi128ELi32ELi8ELi8ELi16ELi16ELi8ELi2ENS_8SequenceIJLi4ELi64ELi1EEEENS8_IJLi1ELi0ELi2EEEESA_Li2ELi8ELi8ELb0ELi1ES9_SA_SA_Li2ELi8ELi8ELb0ELi1ELi1ELi1ENS8_IJLi1ELi32ELi1ELi8EEEELi4ELNS_13LoopSchedulerE0ELNS_15PipelineVersionE0EDF16_Lb0EEEDF16_DF16_NS2_IJPKDF16_EEEDF16_S6_S6_S7_NS_16TensorDescriptorINS2_IJNS_5EmbedINS2_IJiiEEENS2_IJiNS_17integral_constantIiLi1EEEEEELb0EEENS_8RightPadIiiLb0EEESQ_NS_7UnMergeINS2_IJiNSL_IiLi8EEEEEELb0EEENS_11PassThroughIiEEEEENS2_IJNS8_IJLi0EEEENS8_IJLi1EEEENS8_IJLi2EEEENS8_IJLi4EEEENS8_IJLi3EEEEEEENS2_IJNS8_IJLi1ELi2EEEES12_S11_NS8_IJLi5ELi6EEEENS8_IJLi7EEEEEEENS8_IJLi5ELi7ELi6EEEElEES19_NS2_IJNSI_INS2_IJSO_SQ_SQ_NSR_INS2_IJiNSL_IiLi256EEEEEELb0EEENSR_INS2_IJiNSL_IiLi128EEEEEELb0EEEEEENS2_IJSY_SZ_S10_S12_S11_EEENS2_IJS14_S12_S11_S15_NS8_IJLi7ELi8EEEEEEENS8_IJLi5ELi6ELi7ELi8EEEElEEEEES1L_NS_31BlockToCTileMap_M00_N0_M01AdaptILi256ELi128ENSI_INS2_IJSO_SQ_SQ_EEENS2_IJSY_SZ_S10_EEENS2_IJS14_S12_S11_EEENS8_IJLi3ELi4EEEElEEiEELb1EEEvPKT0_PKT1_T2_PT3_T4_T5_T6_T7_T8_T9_T10_T11_
		.amdhsa_group_segment_fixed_size 24672
		.amdhsa_private_segment_fixed_size 0
		.amdhsa_kernarg_size 364
		.amdhsa_user_sgpr_count 2
		.amdhsa_user_sgpr_dispatch_ptr 0
		.amdhsa_user_sgpr_queue_ptr 0
		.amdhsa_user_sgpr_kernarg_segment_ptr 1
		.amdhsa_user_sgpr_dispatch_id 0
		.amdhsa_user_sgpr_private_segment_size 0
		.amdhsa_wavefront_size32 1
		.amdhsa_uses_dynamic_stack 0
		.amdhsa_enable_private_segment 0
		.amdhsa_system_sgpr_workgroup_id_x 1
		.amdhsa_system_sgpr_workgroup_id_y 0
		.amdhsa_system_sgpr_workgroup_id_z 0
		.amdhsa_system_sgpr_workgroup_info 0
		.amdhsa_system_vgpr_workitem_id 0
		.amdhsa_next_free_vgpr 192
		.amdhsa_next_free_sgpr 39
		.amdhsa_reserve_vcc 1
		.amdhsa_float_round_mode_32 0
		.amdhsa_float_round_mode_16_64 0
		.amdhsa_float_denorm_mode_32 3
		.amdhsa_float_denorm_mode_16_64 3
		.amdhsa_fp16_overflow 0
		.amdhsa_workgroup_processor_mode 1
		.amdhsa_memory_ordered 1
		.amdhsa_forward_progress 1
		.amdhsa_inst_pref_size 86
		.amdhsa_round_robin_scheduling 0
		.amdhsa_exception_fp_ieee_invalid_op 0
		.amdhsa_exception_fp_denorm_src 0
		.amdhsa_exception_fp_ieee_div_zero 0
		.amdhsa_exception_fp_ieee_overflow 0
		.amdhsa_exception_fp_ieee_underflow 0
		.amdhsa_exception_fp_ieee_inexact 0
		.amdhsa_exception_int_div_zero 0
	.end_amdhsa_kernel
	.section	.text._ZN2ck35kernel_gemm_multiple_d_xdl_cshuffleINS_34GridwiseGemmMultipleD_xdl_cshuffleIDF16_DF16_DF16_ffNS_5TupleIJDF16_EEEDF16_NS_16tensor_operation12element_wise11PassThroughES6_12AlphaBetaAddLi1ELi256ELi256ELi128ELi32ELi8ELi8ELi16ELi16ELi8ELi2ENS_8SequenceIJLi4ELi64ELi1EEEENS8_IJLi1ELi0ELi2EEEESA_Li2ELi8ELi8ELb0ELi1ES9_SA_SA_Li2ELi8ELi8ELb0ELi1ELi1ELi1ENS8_IJLi1ELi32ELi1ELi8EEEELi4ELNS_13LoopSchedulerE0ELNS_15PipelineVersionE0EDF16_Lb0EEEDF16_DF16_NS2_IJPKDF16_EEEDF16_S6_S6_S7_NS_16TensorDescriptorINS2_IJNS_5EmbedINS2_IJiiEEENS2_IJiNS_17integral_constantIiLi1EEEEEELb0EEENS_8RightPadIiiLb0EEESQ_NS_7UnMergeINS2_IJiNSL_IiLi8EEEEEELb0EEENS_11PassThroughIiEEEEENS2_IJNS8_IJLi0EEEENS8_IJLi1EEEENS8_IJLi2EEEENS8_IJLi4EEEENS8_IJLi3EEEEEEENS2_IJNS8_IJLi1ELi2EEEES12_S11_NS8_IJLi5ELi6EEEENS8_IJLi7EEEEEEENS8_IJLi5ELi7ELi6EEEElEES19_NS2_IJNSI_INS2_IJSO_SQ_SQ_NSR_INS2_IJiNSL_IiLi256EEEEEELb0EEENSR_INS2_IJiNSL_IiLi128EEEEEELb0EEEEEENS2_IJSY_SZ_S10_S12_S11_EEENS2_IJS14_S12_S11_S15_NS8_IJLi7ELi8EEEEEEENS8_IJLi5ELi6ELi7ELi8EEEElEEEEES1L_NS_31BlockToCTileMap_M00_N0_M01AdaptILi256ELi128ENSI_INS2_IJSO_SQ_SQ_EEENS2_IJSY_SZ_S10_EEENS2_IJS14_S12_S11_EEENS8_IJLi3ELi4EEEElEEiEELb1EEEvPKT0_PKT1_T2_PT3_T4_T5_T6_T7_T8_T9_T10_T11_,"axG",@progbits,_ZN2ck35kernel_gemm_multiple_d_xdl_cshuffleINS_34GridwiseGemmMultipleD_xdl_cshuffleIDF16_DF16_DF16_ffNS_5TupleIJDF16_EEEDF16_NS_16tensor_operation12element_wise11PassThroughES6_12AlphaBetaAddLi1ELi256ELi256ELi128ELi32ELi8ELi8ELi16ELi16ELi8ELi2ENS_8SequenceIJLi4ELi64ELi1EEEENS8_IJLi1ELi0ELi2EEEESA_Li2ELi8ELi8ELb0ELi1ES9_SA_SA_Li2ELi8ELi8ELb0ELi1ELi1ELi1ENS8_IJLi1ELi32ELi1ELi8EEEELi4ELNS_13LoopSchedulerE0ELNS_15PipelineVersionE0EDF16_Lb0EEEDF16_DF16_NS2_IJPKDF16_EEEDF16_S6_S6_S7_NS_16TensorDescriptorINS2_IJNS_5EmbedINS2_IJiiEEENS2_IJiNS_17integral_constantIiLi1EEEEEELb0EEENS_8RightPadIiiLb0EEESQ_NS_7UnMergeINS2_IJiNSL_IiLi8EEEEEELb0EEENS_11PassThroughIiEEEEENS2_IJNS8_IJLi0EEEENS8_IJLi1EEEENS8_IJLi2EEEENS8_IJLi4EEEENS8_IJLi3EEEEEEENS2_IJNS8_IJLi1ELi2EEEES12_S11_NS8_IJLi5ELi6EEEENS8_IJLi7EEEEEEENS8_IJLi5ELi7ELi6EEEElEES19_NS2_IJNSI_INS2_IJSO_SQ_SQ_NSR_INS2_IJiNSL_IiLi256EEEEEELb0EEENSR_INS2_IJiNSL_IiLi128EEEEEELb0EEEEEENS2_IJSY_SZ_S10_S12_S11_EEENS2_IJS14_S12_S11_S15_NS8_IJLi7ELi8EEEEEEENS8_IJLi5ELi6ELi7ELi8EEEElEEEEES1L_NS_31BlockToCTileMap_M00_N0_M01AdaptILi256ELi128ENSI_INS2_IJSO_SQ_SQ_EEENS2_IJSY_SZ_S10_EEENS2_IJS14_S12_S11_EEENS8_IJLi3ELi4EEEElEEiEELb1EEEvPKT0_PKT1_T2_PT3_T4_T5_T6_T7_T8_T9_T10_T11_,comdat
.Lfunc_end3:
	.size	_ZN2ck35kernel_gemm_multiple_d_xdl_cshuffleINS_34GridwiseGemmMultipleD_xdl_cshuffleIDF16_DF16_DF16_ffNS_5TupleIJDF16_EEEDF16_NS_16tensor_operation12element_wise11PassThroughES6_12AlphaBetaAddLi1ELi256ELi256ELi128ELi32ELi8ELi8ELi16ELi16ELi8ELi2ENS_8SequenceIJLi4ELi64ELi1EEEENS8_IJLi1ELi0ELi2EEEESA_Li2ELi8ELi8ELb0ELi1ES9_SA_SA_Li2ELi8ELi8ELb0ELi1ELi1ELi1ENS8_IJLi1ELi32ELi1ELi8EEEELi4ELNS_13LoopSchedulerE0ELNS_15PipelineVersionE0EDF16_Lb0EEEDF16_DF16_NS2_IJPKDF16_EEEDF16_S6_S6_S7_NS_16TensorDescriptorINS2_IJNS_5EmbedINS2_IJiiEEENS2_IJiNS_17integral_constantIiLi1EEEEEELb0EEENS_8RightPadIiiLb0EEESQ_NS_7UnMergeINS2_IJiNSL_IiLi8EEEEEELb0EEENS_11PassThroughIiEEEEENS2_IJNS8_IJLi0EEEENS8_IJLi1EEEENS8_IJLi2EEEENS8_IJLi4EEEENS8_IJLi3EEEEEEENS2_IJNS8_IJLi1ELi2EEEES12_S11_NS8_IJLi5ELi6EEEENS8_IJLi7EEEEEEENS8_IJLi5ELi7ELi6EEEElEES19_NS2_IJNSI_INS2_IJSO_SQ_SQ_NSR_INS2_IJiNSL_IiLi256EEEEEELb0EEENSR_INS2_IJiNSL_IiLi128EEEEEELb0EEEEEENS2_IJSY_SZ_S10_S12_S11_EEENS2_IJS14_S12_S11_S15_NS8_IJLi7ELi8EEEEEEENS8_IJLi5ELi6ELi7ELi8EEEElEEEEES1L_NS_31BlockToCTileMap_M00_N0_M01AdaptILi256ELi128ENSI_INS2_IJSO_SQ_SQ_EEENS2_IJSY_SZ_S10_EEENS2_IJS14_S12_S11_EEENS8_IJLi3ELi4EEEElEEiEELb1EEEvPKT0_PKT1_T2_PT3_T4_T5_T6_T7_T8_T9_T10_T11_, .Lfunc_end3-_ZN2ck35kernel_gemm_multiple_d_xdl_cshuffleINS_34GridwiseGemmMultipleD_xdl_cshuffleIDF16_DF16_DF16_ffNS_5TupleIJDF16_EEEDF16_NS_16tensor_operation12element_wise11PassThroughES6_12AlphaBetaAddLi1ELi256ELi256ELi128ELi32ELi8ELi8ELi16ELi16ELi8ELi2ENS_8SequenceIJLi4ELi64ELi1EEEENS8_IJLi1ELi0ELi2EEEESA_Li2ELi8ELi8ELb0ELi1ES9_SA_SA_Li2ELi8ELi8ELb0ELi1ELi1ELi1ENS8_IJLi1ELi32ELi1ELi8EEEELi4ELNS_13LoopSchedulerE0ELNS_15PipelineVersionE0EDF16_Lb0EEEDF16_DF16_NS2_IJPKDF16_EEEDF16_S6_S6_S7_NS_16TensorDescriptorINS2_IJNS_5EmbedINS2_IJiiEEENS2_IJiNS_17integral_constantIiLi1EEEEEELb0EEENS_8RightPadIiiLb0EEESQ_NS_7UnMergeINS2_IJiNSL_IiLi8EEEEEELb0EEENS_11PassThroughIiEEEEENS2_IJNS8_IJLi0EEEENS8_IJLi1EEEENS8_IJLi2EEEENS8_IJLi4EEEENS8_IJLi3EEEEEEENS2_IJNS8_IJLi1ELi2EEEES12_S11_NS8_IJLi5ELi6EEEENS8_IJLi7EEEEEEENS8_IJLi5ELi7ELi6EEEElEES19_NS2_IJNSI_INS2_IJSO_SQ_SQ_NSR_INS2_IJiNSL_IiLi256EEEEEELb0EEENSR_INS2_IJiNSL_IiLi128EEEEEELb0EEEEEENS2_IJSY_SZ_S10_S12_S11_EEENS2_IJS14_S12_S11_S15_NS8_IJLi7ELi8EEEEEEENS8_IJLi5ELi6ELi7ELi8EEEElEEEEES1L_NS_31BlockToCTileMap_M00_N0_M01AdaptILi256ELi128ENSI_INS2_IJSO_SQ_SQ_EEENS2_IJSY_SZ_S10_EEENS2_IJS14_S12_S11_EEENS8_IJLi3ELi4EEEElEEiEELb1EEEvPKT0_PKT1_T2_PT3_T4_T5_T6_T7_T8_T9_T10_T11_
                                        ; -- End function
	.set _ZN2ck35kernel_gemm_multiple_d_xdl_cshuffleINS_34GridwiseGemmMultipleD_xdl_cshuffleIDF16_DF16_DF16_ffNS_5TupleIJDF16_EEEDF16_NS_16tensor_operation12element_wise11PassThroughES6_12AlphaBetaAddLi1ELi256ELi256ELi128ELi32ELi8ELi8ELi16ELi16ELi8ELi2ENS_8SequenceIJLi4ELi64ELi1EEEENS8_IJLi1ELi0ELi2EEEESA_Li2ELi8ELi8ELb0ELi1ES9_SA_SA_Li2ELi8ELi8ELb0ELi1ELi1ELi1ENS8_IJLi1ELi32ELi1ELi8EEEELi4ELNS_13LoopSchedulerE0ELNS_15PipelineVersionE0EDF16_Lb0EEEDF16_DF16_NS2_IJPKDF16_EEEDF16_S6_S6_S7_NS_16TensorDescriptorINS2_IJNS_5EmbedINS2_IJiiEEENS2_IJiNS_17integral_constantIiLi1EEEEEELb0EEENS_8RightPadIiiLb0EEESQ_NS_7UnMergeINS2_IJiNSL_IiLi8EEEEEELb0EEENS_11PassThroughIiEEEEENS2_IJNS8_IJLi0EEEENS8_IJLi1EEEENS8_IJLi2EEEENS8_IJLi4EEEENS8_IJLi3EEEEEEENS2_IJNS8_IJLi1ELi2EEEES12_S11_NS8_IJLi5ELi6EEEENS8_IJLi7EEEEEEENS8_IJLi5ELi7ELi6EEEElEES19_NS2_IJNSI_INS2_IJSO_SQ_SQ_NSR_INS2_IJiNSL_IiLi256EEEEEELb0EEENSR_INS2_IJiNSL_IiLi128EEEEEELb0EEEEEENS2_IJSY_SZ_S10_S12_S11_EEENS2_IJS14_S12_S11_S15_NS8_IJLi7ELi8EEEEEEENS8_IJLi5ELi6ELi7ELi8EEEElEEEEES1L_NS_31BlockToCTileMap_M00_N0_M01AdaptILi256ELi128ENSI_INS2_IJSO_SQ_SQ_EEENS2_IJSY_SZ_S10_EEENS2_IJS14_S12_S11_EEENS8_IJLi3ELi4EEEElEEiEELb1EEEvPKT0_PKT1_T2_PT3_T4_T5_T6_T7_T8_T9_T10_T11_.num_vgpr, 192
	.set _ZN2ck35kernel_gemm_multiple_d_xdl_cshuffleINS_34GridwiseGemmMultipleD_xdl_cshuffleIDF16_DF16_DF16_ffNS_5TupleIJDF16_EEEDF16_NS_16tensor_operation12element_wise11PassThroughES6_12AlphaBetaAddLi1ELi256ELi256ELi128ELi32ELi8ELi8ELi16ELi16ELi8ELi2ENS_8SequenceIJLi4ELi64ELi1EEEENS8_IJLi1ELi0ELi2EEEESA_Li2ELi8ELi8ELb0ELi1ES9_SA_SA_Li2ELi8ELi8ELb0ELi1ELi1ELi1ENS8_IJLi1ELi32ELi1ELi8EEEELi4ELNS_13LoopSchedulerE0ELNS_15PipelineVersionE0EDF16_Lb0EEEDF16_DF16_NS2_IJPKDF16_EEEDF16_S6_S6_S7_NS_16TensorDescriptorINS2_IJNS_5EmbedINS2_IJiiEEENS2_IJiNS_17integral_constantIiLi1EEEEEELb0EEENS_8RightPadIiiLb0EEESQ_NS_7UnMergeINS2_IJiNSL_IiLi8EEEEEELb0EEENS_11PassThroughIiEEEEENS2_IJNS8_IJLi0EEEENS8_IJLi1EEEENS8_IJLi2EEEENS8_IJLi4EEEENS8_IJLi3EEEEEEENS2_IJNS8_IJLi1ELi2EEEES12_S11_NS8_IJLi5ELi6EEEENS8_IJLi7EEEEEEENS8_IJLi5ELi7ELi6EEEElEES19_NS2_IJNSI_INS2_IJSO_SQ_SQ_NSR_INS2_IJiNSL_IiLi256EEEEEELb0EEENSR_INS2_IJiNSL_IiLi128EEEEEELb0EEEEEENS2_IJSY_SZ_S10_S12_S11_EEENS2_IJS14_S12_S11_S15_NS8_IJLi7ELi8EEEEEEENS8_IJLi5ELi6ELi7ELi8EEEElEEEEES1L_NS_31BlockToCTileMap_M00_N0_M01AdaptILi256ELi128ENSI_INS2_IJSO_SQ_SQ_EEENS2_IJSY_SZ_S10_EEENS2_IJS14_S12_S11_EEENS8_IJLi3ELi4EEEElEEiEELb1EEEvPKT0_PKT1_T2_PT3_T4_T5_T6_T7_T8_T9_T10_T11_.num_agpr, 0
	.set _ZN2ck35kernel_gemm_multiple_d_xdl_cshuffleINS_34GridwiseGemmMultipleD_xdl_cshuffleIDF16_DF16_DF16_ffNS_5TupleIJDF16_EEEDF16_NS_16tensor_operation12element_wise11PassThroughES6_12AlphaBetaAddLi1ELi256ELi256ELi128ELi32ELi8ELi8ELi16ELi16ELi8ELi2ENS_8SequenceIJLi4ELi64ELi1EEEENS8_IJLi1ELi0ELi2EEEESA_Li2ELi8ELi8ELb0ELi1ES9_SA_SA_Li2ELi8ELi8ELb0ELi1ELi1ELi1ENS8_IJLi1ELi32ELi1ELi8EEEELi4ELNS_13LoopSchedulerE0ELNS_15PipelineVersionE0EDF16_Lb0EEEDF16_DF16_NS2_IJPKDF16_EEEDF16_S6_S6_S7_NS_16TensorDescriptorINS2_IJNS_5EmbedINS2_IJiiEEENS2_IJiNS_17integral_constantIiLi1EEEEEELb0EEENS_8RightPadIiiLb0EEESQ_NS_7UnMergeINS2_IJiNSL_IiLi8EEEEEELb0EEENS_11PassThroughIiEEEEENS2_IJNS8_IJLi0EEEENS8_IJLi1EEEENS8_IJLi2EEEENS8_IJLi4EEEENS8_IJLi3EEEEEEENS2_IJNS8_IJLi1ELi2EEEES12_S11_NS8_IJLi5ELi6EEEENS8_IJLi7EEEEEEENS8_IJLi5ELi7ELi6EEEElEES19_NS2_IJNSI_INS2_IJSO_SQ_SQ_NSR_INS2_IJiNSL_IiLi256EEEEEELb0EEENSR_INS2_IJiNSL_IiLi128EEEEEELb0EEEEEENS2_IJSY_SZ_S10_S12_S11_EEENS2_IJS14_S12_S11_S15_NS8_IJLi7ELi8EEEEEEENS8_IJLi5ELi6ELi7ELi8EEEElEEEEES1L_NS_31BlockToCTileMap_M00_N0_M01AdaptILi256ELi128ENSI_INS2_IJSO_SQ_SQ_EEENS2_IJSY_SZ_S10_EEENS2_IJS14_S12_S11_EEENS8_IJLi3ELi4EEEElEEiEELb1EEEvPKT0_PKT1_T2_PT3_T4_T5_T6_T7_T8_T9_T10_T11_.numbered_sgpr, 39
	.set _ZN2ck35kernel_gemm_multiple_d_xdl_cshuffleINS_34GridwiseGemmMultipleD_xdl_cshuffleIDF16_DF16_DF16_ffNS_5TupleIJDF16_EEEDF16_NS_16tensor_operation12element_wise11PassThroughES6_12AlphaBetaAddLi1ELi256ELi256ELi128ELi32ELi8ELi8ELi16ELi16ELi8ELi2ENS_8SequenceIJLi4ELi64ELi1EEEENS8_IJLi1ELi0ELi2EEEESA_Li2ELi8ELi8ELb0ELi1ES9_SA_SA_Li2ELi8ELi8ELb0ELi1ELi1ELi1ENS8_IJLi1ELi32ELi1ELi8EEEELi4ELNS_13LoopSchedulerE0ELNS_15PipelineVersionE0EDF16_Lb0EEEDF16_DF16_NS2_IJPKDF16_EEEDF16_S6_S6_S7_NS_16TensorDescriptorINS2_IJNS_5EmbedINS2_IJiiEEENS2_IJiNS_17integral_constantIiLi1EEEEEELb0EEENS_8RightPadIiiLb0EEESQ_NS_7UnMergeINS2_IJiNSL_IiLi8EEEEEELb0EEENS_11PassThroughIiEEEEENS2_IJNS8_IJLi0EEEENS8_IJLi1EEEENS8_IJLi2EEEENS8_IJLi4EEEENS8_IJLi3EEEEEEENS2_IJNS8_IJLi1ELi2EEEES12_S11_NS8_IJLi5ELi6EEEENS8_IJLi7EEEEEEENS8_IJLi5ELi7ELi6EEEElEES19_NS2_IJNSI_INS2_IJSO_SQ_SQ_NSR_INS2_IJiNSL_IiLi256EEEEEELb0EEENSR_INS2_IJiNSL_IiLi128EEEEEELb0EEEEEENS2_IJSY_SZ_S10_S12_S11_EEENS2_IJS14_S12_S11_S15_NS8_IJLi7ELi8EEEEEEENS8_IJLi5ELi6ELi7ELi8EEEElEEEEES1L_NS_31BlockToCTileMap_M00_N0_M01AdaptILi256ELi128ENSI_INS2_IJSO_SQ_SQ_EEENS2_IJSY_SZ_S10_EEENS2_IJS14_S12_S11_EEENS8_IJLi3ELi4EEEElEEiEELb1EEEvPKT0_PKT1_T2_PT3_T4_T5_T6_T7_T8_T9_T10_T11_.num_named_barrier, 0
	.set _ZN2ck35kernel_gemm_multiple_d_xdl_cshuffleINS_34GridwiseGemmMultipleD_xdl_cshuffleIDF16_DF16_DF16_ffNS_5TupleIJDF16_EEEDF16_NS_16tensor_operation12element_wise11PassThroughES6_12AlphaBetaAddLi1ELi256ELi256ELi128ELi32ELi8ELi8ELi16ELi16ELi8ELi2ENS_8SequenceIJLi4ELi64ELi1EEEENS8_IJLi1ELi0ELi2EEEESA_Li2ELi8ELi8ELb0ELi1ES9_SA_SA_Li2ELi8ELi8ELb0ELi1ELi1ELi1ENS8_IJLi1ELi32ELi1ELi8EEEELi4ELNS_13LoopSchedulerE0ELNS_15PipelineVersionE0EDF16_Lb0EEEDF16_DF16_NS2_IJPKDF16_EEEDF16_S6_S6_S7_NS_16TensorDescriptorINS2_IJNS_5EmbedINS2_IJiiEEENS2_IJiNS_17integral_constantIiLi1EEEEEELb0EEENS_8RightPadIiiLb0EEESQ_NS_7UnMergeINS2_IJiNSL_IiLi8EEEEEELb0EEENS_11PassThroughIiEEEEENS2_IJNS8_IJLi0EEEENS8_IJLi1EEEENS8_IJLi2EEEENS8_IJLi4EEEENS8_IJLi3EEEEEEENS2_IJNS8_IJLi1ELi2EEEES12_S11_NS8_IJLi5ELi6EEEENS8_IJLi7EEEEEEENS8_IJLi5ELi7ELi6EEEElEES19_NS2_IJNSI_INS2_IJSO_SQ_SQ_NSR_INS2_IJiNSL_IiLi256EEEEEELb0EEENSR_INS2_IJiNSL_IiLi128EEEEEELb0EEEEEENS2_IJSY_SZ_S10_S12_S11_EEENS2_IJS14_S12_S11_S15_NS8_IJLi7ELi8EEEEEEENS8_IJLi5ELi6ELi7ELi8EEEElEEEEES1L_NS_31BlockToCTileMap_M00_N0_M01AdaptILi256ELi128ENSI_INS2_IJSO_SQ_SQ_EEENS2_IJSY_SZ_S10_EEENS2_IJS14_S12_S11_EEENS8_IJLi3ELi4EEEElEEiEELb1EEEvPKT0_PKT1_T2_PT3_T4_T5_T6_T7_T8_T9_T10_T11_.private_seg_size, 0
	.set _ZN2ck35kernel_gemm_multiple_d_xdl_cshuffleINS_34GridwiseGemmMultipleD_xdl_cshuffleIDF16_DF16_DF16_ffNS_5TupleIJDF16_EEEDF16_NS_16tensor_operation12element_wise11PassThroughES6_12AlphaBetaAddLi1ELi256ELi256ELi128ELi32ELi8ELi8ELi16ELi16ELi8ELi2ENS_8SequenceIJLi4ELi64ELi1EEEENS8_IJLi1ELi0ELi2EEEESA_Li2ELi8ELi8ELb0ELi1ES9_SA_SA_Li2ELi8ELi8ELb0ELi1ELi1ELi1ENS8_IJLi1ELi32ELi1ELi8EEEELi4ELNS_13LoopSchedulerE0ELNS_15PipelineVersionE0EDF16_Lb0EEEDF16_DF16_NS2_IJPKDF16_EEEDF16_S6_S6_S7_NS_16TensorDescriptorINS2_IJNS_5EmbedINS2_IJiiEEENS2_IJiNS_17integral_constantIiLi1EEEEEELb0EEENS_8RightPadIiiLb0EEESQ_NS_7UnMergeINS2_IJiNSL_IiLi8EEEEEELb0EEENS_11PassThroughIiEEEEENS2_IJNS8_IJLi0EEEENS8_IJLi1EEEENS8_IJLi2EEEENS8_IJLi4EEEENS8_IJLi3EEEEEEENS2_IJNS8_IJLi1ELi2EEEES12_S11_NS8_IJLi5ELi6EEEENS8_IJLi7EEEEEEENS8_IJLi5ELi7ELi6EEEElEES19_NS2_IJNSI_INS2_IJSO_SQ_SQ_NSR_INS2_IJiNSL_IiLi256EEEEEELb0EEENSR_INS2_IJiNSL_IiLi128EEEEEELb0EEEEEENS2_IJSY_SZ_S10_S12_S11_EEENS2_IJS14_S12_S11_S15_NS8_IJLi7ELi8EEEEEEENS8_IJLi5ELi6ELi7ELi8EEEElEEEEES1L_NS_31BlockToCTileMap_M00_N0_M01AdaptILi256ELi128ENSI_INS2_IJSO_SQ_SQ_EEENS2_IJSY_SZ_S10_EEENS2_IJS14_S12_S11_EEENS8_IJLi3ELi4EEEElEEiEELb1EEEvPKT0_PKT1_T2_PT3_T4_T5_T6_T7_T8_T9_T10_T11_.uses_vcc, 1
	.set _ZN2ck35kernel_gemm_multiple_d_xdl_cshuffleINS_34GridwiseGemmMultipleD_xdl_cshuffleIDF16_DF16_DF16_ffNS_5TupleIJDF16_EEEDF16_NS_16tensor_operation12element_wise11PassThroughES6_12AlphaBetaAddLi1ELi256ELi256ELi128ELi32ELi8ELi8ELi16ELi16ELi8ELi2ENS_8SequenceIJLi4ELi64ELi1EEEENS8_IJLi1ELi0ELi2EEEESA_Li2ELi8ELi8ELb0ELi1ES9_SA_SA_Li2ELi8ELi8ELb0ELi1ELi1ELi1ENS8_IJLi1ELi32ELi1ELi8EEEELi4ELNS_13LoopSchedulerE0ELNS_15PipelineVersionE0EDF16_Lb0EEEDF16_DF16_NS2_IJPKDF16_EEEDF16_S6_S6_S7_NS_16TensorDescriptorINS2_IJNS_5EmbedINS2_IJiiEEENS2_IJiNS_17integral_constantIiLi1EEEEEELb0EEENS_8RightPadIiiLb0EEESQ_NS_7UnMergeINS2_IJiNSL_IiLi8EEEEEELb0EEENS_11PassThroughIiEEEEENS2_IJNS8_IJLi0EEEENS8_IJLi1EEEENS8_IJLi2EEEENS8_IJLi4EEEENS8_IJLi3EEEEEEENS2_IJNS8_IJLi1ELi2EEEES12_S11_NS8_IJLi5ELi6EEEENS8_IJLi7EEEEEEENS8_IJLi5ELi7ELi6EEEElEES19_NS2_IJNSI_INS2_IJSO_SQ_SQ_NSR_INS2_IJiNSL_IiLi256EEEEEELb0EEENSR_INS2_IJiNSL_IiLi128EEEEEELb0EEEEEENS2_IJSY_SZ_S10_S12_S11_EEENS2_IJS14_S12_S11_S15_NS8_IJLi7ELi8EEEEEEENS8_IJLi5ELi6ELi7ELi8EEEElEEEEES1L_NS_31BlockToCTileMap_M00_N0_M01AdaptILi256ELi128ENSI_INS2_IJSO_SQ_SQ_EEENS2_IJSY_SZ_S10_EEENS2_IJS14_S12_S11_EEENS8_IJLi3ELi4EEEElEEiEELb1EEEvPKT0_PKT1_T2_PT3_T4_T5_T6_T7_T8_T9_T10_T11_.uses_flat_scratch, 0
	.set _ZN2ck35kernel_gemm_multiple_d_xdl_cshuffleINS_34GridwiseGemmMultipleD_xdl_cshuffleIDF16_DF16_DF16_ffNS_5TupleIJDF16_EEEDF16_NS_16tensor_operation12element_wise11PassThroughES6_12AlphaBetaAddLi1ELi256ELi256ELi128ELi32ELi8ELi8ELi16ELi16ELi8ELi2ENS_8SequenceIJLi4ELi64ELi1EEEENS8_IJLi1ELi0ELi2EEEESA_Li2ELi8ELi8ELb0ELi1ES9_SA_SA_Li2ELi8ELi8ELb0ELi1ELi1ELi1ENS8_IJLi1ELi32ELi1ELi8EEEELi4ELNS_13LoopSchedulerE0ELNS_15PipelineVersionE0EDF16_Lb0EEEDF16_DF16_NS2_IJPKDF16_EEEDF16_S6_S6_S7_NS_16TensorDescriptorINS2_IJNS_5EmbedINS2_IJiiEEENS2_IJiNS_17integral_constantIiLi1EEEEEELb0EEENS_8RightPadIiiLb0EEESQ_NS_7UnMergeINS2_IJiNSL_IiLi8EEEEEELb0EEENS_11PassThroughIiEEEEENS2_IJNS8_IJLi0EEEENS8_IJLi1EEEENS8_IJLi2EEEENS8_IJLi4EEEENS8_IJLi3EEEEEEENS2_IJNS8_IJLi1ELi2EEEES12_S11_NS8_IJLi5ELi6EEEENS8_IJLi7EEEEEEENS8_IJLi5ELi7ELi6EEEElEES19_NS2_IJNSI_INS2_IJSO_SQ_SQ_NSR_INS2_IJiNSL_IiLi256EEEEEELb0EEENSR_INS2_IJiNSL_IiLi128EEEEEELb0EEEEEENS2_IJSY_SZ_S10_S12_S11_EEENS2_IJS14_S12_S11_S15_NS8_IJLi7ELi8EEEEEEENS8_IJLi5ELi6ELi7ELi8EEEElEEEEES1L_NS_31BlockToCTileMap_M00_N0_M01AdaptILi256ELi128ENSI_INS2_IJSO_SQ_SQ_EEENS2_IJSY_SZ_S10_EEENS2_IJS14_S12_S11_EEENS8_IJLi3ELi4EEEElEEiEELb1EEEvPKT0_PKT1_T2_PT3_T4_T5_T6_T7_T8_T9_T10_T11_.has_dyn_sized_stack, 0
	.set _ZN2ck35kernel_gemm_multiple_d_xdl_cshuffleINS_34GridwiseGemmMultipleD_xdl_cshuffleIDF16_DF16_DF16_ffNS_5TupleIJDF16_EEEDF16_NS_16tensor_operation12element_wise11PassThroughES6_12AlphaBetaAddLi1ELi256ELi256ELi128ELi32ELi8ELi8ELi16ELi16ELi8ELi2ENS_8SequenceIJLi4ELi64ELi1EEEENS8_IJLi1ELi0ELi2EEEESA_Li2ELi8ELi8ELb0ELi1ES9_SA_SA_Li2ELi8ELi8ELb0ELi1ELi1ELi1ENS8_IJLi1ELi32ELi1ELi8EEEELi4ELNS_13LoopSchedulerE0ELNS_15PipelineVersionE0EDF16_Lb0EEEDF16_DF16_NS2_IJPKDF16_EEEDF16_S6_S6_S7_NS_16TensorDescriptorINS2_IJNS_5EmbedINS2_IJiiEEENS2_IJiNS_17integral_constantIiLi1EEEEEELb0EEENS_8RightPadIiiLb0EEESQ_NS_7UnMergeINS2_IJiNSL_IiLi8EEEEEELb0EEENS_11PassThroughIiEEEEENS2_IJNS8_IJLi0EEEENS8_IJLi1EEEENS8_IJLi2EEEENS8_IJLi4EEEENS8_IJLi3EEEEEEENS2_IJNS8_IJLi1ELi2EEEES12_S11_NS8_IJLi5ELi6EEEENS8_IJLi7EEEEEEENS8_IJLi5ELi7ELi6EEEElEES19_NS2_IJNSI_INS2_IJSO_SQ_SQ_NSR_INS2_IJiNSL_IiLi256EEEEEELb0EEENSR_INS2_IJiNSL_IiLi128EEEEEELb0EEEEEENS2_IJSY_SZ_S10_S12_S11_EEENS2_IJS14_S12_S11_S15_NS8_IJLi7ELi8EEEEEEENS8_IJLi5ELi6ELi7ELi8EEEElEEEEES1L_NS_31BlockToCTileMap_M00_N0_M01AdaptILi256ELi128ENSI_INS2_IJSO_SQ_SQ_EEENS2_IJSY_SZ_S10_EEENS2_IJS14_S12_S11_EEENS8_IJLi3ELi4EEEElEEiEELb1EEEvPKT0_PKT1_T2_PT3_T4_T5_T6_T7_T8_T9_T10_T11_.has_recursion, 0
	.set _ZN2ck35kernel_gemm_multiple_d_xdl_cshuffleINS_34GridwiseGemmMultipleD_xdl_cshuffleIDF16_DF16_DF16_ffNS_5TupleIJDF16_EEEDF16_NS_16tensor_operation12element_wise11PassThroughES6_12AlphaBetaAddLi1ELi256ELi256ELi128ELi32ELi8ELi8ELi16ELi16ELi8ELi2ENS_8SequenceIJLi4ELi64ELi1EEEENS8_IJLi1ELi0ELi2EEEESA_Li2ELi8ELi8ELb0ELi1ES9_SA_SA_Li2ELi8ELi8ELb0ELi1ELi1ELi1ENS8_IJLi1ELi32ELi1ELi8EEEELi4ELNS_13LoopSchedulerE0ELNS_15PipelineVersionE0EDF16_Lb0EEEDF16_DF16_NS2_IJPKDF16_EEEDF16_S6_S6_S7_NS_16TensorDescriptorINS2_IJNS_5EmbedINS2_IJiiEEENS2_IJiNS_17integral_constantIiLi1EEEEEELb0EEENS_8RightPadIiiLb0EEESQ_NS_7UnMergeINS2_IJiNSL_IiLi8EEEEEELb0EEENS_11PassThroughIiEEEEENS2_IJNS8_IJLi0EEEENS8_IJLi1EEEENS8_IJLi2EEEENS8_IJLi4EEEENS8_IJLi3EEEEEEENS2_IJNS8_IJLi1ELi2EEEES12_S11_NS8_IJLi5ELi6EEEENS8_IJLi7EEEEEEENS8_IJLi5ELi7ELi6EEEElEES19_NS2_IJNSI_INS2_IJSO_SQ_SQ_NSR_INS2_IJiNSL_IiLi256EEEEEELb0EEENSR_INS2_IJiNSL_IiLi128EEEEEELb0EEEEEENS2_IJSY_SZ_S10_S12_S11_EEENS2_IJS14_S12_S11_S15_NS8_IJLi7ELi8EEEEEEENS8_IJLi5ELi6ELi7ELi8EEEElEEEEES1L_NS_31BlockToCTileMap_M00_N0_M01AdaptILi256ELi128ENSI_INS2_IJSO_SQ_SQ_EEENS2_IJSY_SZ_S10_EEENS2_IJS14_S12_S11_EEENS8_IJLi3ELi4EEEElEEiEELb1EEEvPKT0_PKT1_T2_PT3_T4_T5_T6_T7_T8_T9_T10_T11_.has_indirect_call, 0
	.section	.AMDGPU.csdata,"",@progbits
; Kernel info:
; codeLenInByte = 10916
; TotalNumSgprs: 41
; NumVgprs: 192
; ScratchSize: 0
; MemoryBound: 0
; FloatMode: 240
; IeeeMode: 1
; LDSByteSize: 24672 bytes/workgroup (compile time only)
; SGPRBlocks: 0
; VGPRBlocks: 23
; NumSGPRsForWavesPerEU: 41
; NumVGPRsForWavesPerEU: 192
; Occupancy: 8
; WaveLimiterHint : 0
; COMPUTE_PGM_RSRC2:SCRATCH_EN: 0
; COMPUTE_PGM_RSRC2:USER_SGPR: 2
; COMPUTE_PGM_RSRC2:TRAP_HANDLER: 0
; COMPUTE_PGM_RSRC2:TGID_X_EN: 1
; COMPUTE_PGM_RSRC2:TGID_Y_EN: 0
; COMPUTE_PGM_RSRC2:TGID_Z_EN: 0
; COMPUTE_PGM_RSRC2:TIDIG_COMP_CNT: 0
	.section	.text._ZN2ck35kernel_gemm_multiple_d_xdl_cshuffleINS_34GridwiseGemmMultipleD_xdl_cshuffleIDF16_DF16_DF16_ffNS_5TupleIJDF16_EEEDF16_NS_16tensor_operation12element_wise11PassThroughES6_12AlphaBetaAddLi1ELi256ELi256ELi128ELi32ELi8ELi8ELi16ELi16ELi8ELi2ENS_8SequenceIJLi4ELi64ELi1EEEENS8_IJLi1ELi0ELi2EEEESA_Li2ELi8ELi8ELb0ELi1ES9_SA_SA_Li2ELi8ELi8ELb0ELi1ELi1ELi1ENS8_IJLi1ELi32ELi1ELi8EEEELi4ELNS_13LoopSchedulerE0ELNS_15PipelineVersionE0EDF16_Lb0EEEDF16_DF16_NS2_IJPKDF16_EEEDF16_S6_S6_S7_NS_16TensorDescriptorINS2_IJNS_5EmbedINS2_IJiiEEENS2_IJiNS_17integral_constantIiLi1EEEEEELb0EEENS_8RightPadIiiLb0EEESQ_NS_7UnMergeINS2_IJiNSL_IiLi8EEEEEELb0EEENS_11PassThroughIiEEEEENS2_IJNS8_IJLi0EEEENS8_IJLi1EEEENS8_IJLi2EEEENS8_IJLi4EEEENS8_IJLi3EEEEEEENS2_IJNS8_IJLi1ELi2EEEES12_S11_NS8_IJLi5ELi6EEEENS8_IJLi7EEEEEEENS8_IJLi5ELi7ELi6EEEElEES19_NS2_IJNSI_INS2_IJSO_SQ_SQ_NSR_INS2_IJiNSL_IiLi256EEEEEELb0EEENSR_INS2_IJiNSL_IiLi128EEEEEELb0EEEEEENS2_IJSY_SZ_S10_S12_S11_EEENS2_IJS14_S12_S11_S15_NS8_IJLi7ELi8EEEEEEENS8_IJLi5ELi6ELi7ELi8EEEElEEEEES1L_NS_31BlockToCTileMap_M00_N0_M01AdaptILi256ELi128ENSI_INS2_IJSO_SQ_SQ_EEENS2_IJSY_SZ_S10_EEENS2_IJS14_S12_S11_EEENS8_IJLi3ELi4EEEElEEiEELb0EEEvPKT0_PKT1_T2_PT3_T4_T5_T6_T7_T8_T9_T10_T11_,"axG",@progbits,_ZN2ck35kernel_gemm_multiple_d_xdl_cshuffleINS_34GridwiseGemmMultipleD_xdl_cshuffleIDF16_DF16_DF16_ffNS_5TupleIJDF16_EEEDF16_NS_16tensor_operation12element_wise11PassThroughES6_12AlphaBetaAddLi1ELi256ELi256ELi128ELi32ELi8ELi8ELi16ELi16ELi8ELi2ENS_8SequenceIJLi4ELi64ELi1EEEENS8_IJLi1ELi0ELi2EEEESA_Li2ELi8ELi8ELb0ELi1ES9_SA_SA_Li2ELi8ELi8ELb0ELi1ELi1ELi1ENS8_IJLi1ELi32ELi1ELi8EEEELi4ELNS_13LoopSchedulerE0ELNS_15PipelineVersionE0EDF16_Lb0EEEDF16_DF16_NS2_IJPKDF16_EEEDF16_S6_S6_S7_NS_16TensorDescriptorINS2_IJNS_5EmbedINS2_IJiiEEENS2_IJiNS_17integral_constantIiLi1EEEEEELb0EEENS_8RightPadIiiLb0EEESQ_NS_7UnMergeINS2_IJiNSL_IiLi8EEEEEELb0EEENS_11PassThroughIiEEEEENS2_IJNS8_IJLi0EEEENS8_IJLi1EEEENS8_IJLi2EEEENS8_IJLi4EEEENS8_IJLi3EEEEEEENS2_IJNS8_IJLi1ELi2EEEES12_S11_NS8_IJLi5ELi6EEEENS8_IJLi7EEEEEEENS8_IJLi5ELi7ELi6EEEElEES19_NS2_IJNSI_INS2_IJSO_SQ_SQ_NSR_INS2_IJiNSL_IiLi256EEEEEELb0EEENSR_INS2_IJiNSL_IiLi128EEEEEELb0EEEEEENS2_IJSY_SZ_S10_S12_S11_EEENS2_IJS14_S12_S11_S15_NS8_IJLi7ELi8EEEEEEENS8_IJLi5ELi6ELi7ELi8EEEElEEEEES1L_NS_31BlockToCTileMap_M00_N0_M01AdaptILi256ELi128ENSI_INS2_IJSO_SQ_SQ_EEENS2_IJSY_SZ_S10_EEENS2_IJS14_S12_S11_EEENS8_IJLi3ELi4EEEElEEiEELb0EEEvPKT0_PKT1_T2_PT3_T4_T5_T6_T7_T8_T9_T10_T11_,comdat
	.protected	_ZN2ck35kernel_gemm_multiple_d_xdl_cshuffleINS_34GridwiseGemmMultipleD_xdl_cshuffleIDF16_DF16_DF16_ffNS_5TupleIJDF16_EEEDF16_NS_16tensor_operation12element_wise11PassThroughES6_12AlphaBetaAddLi1ELi256ELi256ELi128ELi32ELi8ELi8ELi16ELi16ELi8ELi2ENS_8SequenceIJLi4ELi64ELi1EEEENS8_IJLi1ELi0ELi2EEEESA_Li2ELi8ELi8ELb0ELi1ES9_SA_SA_Li2ELi8ELi8ELb0ELi1ELi1ELi1ENS8_IJLi1ELi32ELi1ELi8EEEELi4ELNS_13LoopSchedulerE0ELNS_15PipelineVersionE0EDF16_Lb0EEEDF16_DF16_NS2_IJPKDF16_EEEDF16_S6_S6_S7_NS_16TensorDescriptorINS2_IJNS_5EmbedINS2_IJiiEEENS2_IJiNS_17integral_constantIiLi1EEEEEELb0EEENS_8RightPadIiiLb0EEESQ_NS_7UnMergeINS2_IJiNSL_IiLi8EEEEEELb0EEENS_11PassThroughIiEEEEENS2_IJNS8_IJLi0EEEENS8_IJLi1EEEENS8_IJLi2EEEENS8_IJLi4EEEENS8_IJLi3EEEEEEENS2_IJNS8_IJLi1ELi2EEEES12_S11_NS8_IJLi5ELi6EEEENS8_IJLi7EEEEEEENS8_IJLi5ELi7ELi6EEEElEES19_NS2_IJNSI_INS2_IJSO_SQ_SQ_NSR_INS2_IJiNSL_IiLi256EEEEEELb0EEENSR_INS2_IJiNSL_IiLi128EEEEEELb0EEEEEENS2_IJSY_SZ_S10_S12_S11_EEENS2_IJS14_S12_S11_S15_NS8_IJLi7ELi8EEEEEEENS8_IJLi5ELi6ELi7ELi8EEEElEEEEES1L_NS_31BlockToCTileMap_M00_N0_M01AdaptILi256ELi128ENSI_INS2_IJSO_SQ_SQ_EEENS2_IJSY_SZ_S10_EEENS2_IJS14_S12_S11_EEENS8_IJLi3ELi4EEEElEEiEELb0EEEvPKT0_PKT1_T2_PT3_T4_T5_T6_T7_T8_T9_T10_T11_ ; -- Begin function _ZN2ck35kernel_gemm_multiple_d_xdl_cshuffleINS_34GridwiseGemmMultipleD_xdl_cshuffleIDF16_DF16_DF16_ffNS_5TupleIJDF16_EEEDF16_NS_16tensor_operation12element_wise11PassThroughES6_12AlphaBetaAddLi1ELi256ELi256ELi128ELi32ELi8ELi8ELi16ELi16ELi8ELi2ENS_8SequenceIJLi4ELi64ELi1EEEENS8_IJLi1ELi0ELi2EEEESA_Li2ELi8ELi8ELb0ELi1ES9_SA_SA_Li2ELi8ELi8ELb0ELi1ELi1ELi1ENS8_IJLi1ELi32ELi1ELi8EEEELi4ELNS_13LoopSchedulerE0ELNS_15PipelineVersionE0EDF16_Lb0EEEDF16_DF16_NS2_IJPKDF16_EEEDF16_S6_S6_S7_NS_16TensorDescriptorINS2_IJNS_5EmbedINS2_IJiiEEENS2_IJiNS_17integral_constantIiLi1EEEEEELb0EEENS_8RightPadIiiLb0EEESQ_NS_7UnMergeINS2_IJiNSL_IiLi8EEEEEELb0EEENS_11PassThroughIiEEEEENS2_IJNS8_IJLi0EEEENS8_IJLi1EEEENS8_IJLi2EEEENS8_IJLi4EEEENS8_IJLi3EEEEEEENS2_IJNS8_IJLi1ELi2EEEES12_S11_NS8_IJLi5ELi6EEEENS8_IJLi7EEEEEEENS8_IJLi5ELi7ELi6EEEElEES19_NS2_IJNSI_INS2_IJSO_SQ_SQ_NSR_INS2_IJiNSL_IiLi256EEEEEELb0EEENSR_INS2_IJiNSL_IiLi128EEEEEELb0EEEEEENS2_IJSY_SZ_S10_S12_S11_EEENS2_IJS14_S12_S11_S15_NS8_IJLi7ELi8EEEEEEENS8_IJLi5ELi6ELi7ELi8EEEElEEEEES1L_NS_31BlockToCTileMap_M00_N0_M01AdaptILi256ELi128ENSI_INS2_IJSO_SQ_SQ_EEENS2_IJSY_SZ_S10_EEENS2_IJS14_S12_S11_EEENS8_IJLi3ELi4EEEElEEiEELb0EEEvPKT0_PKT1_T2_PT3_T4_T5_T6_T7_T8_T9_T10_T11_
	.globl	_ZN2ck35kernel_gemm_multiple_d_xdl_cshuffleINS_34GridwiseGemmMultipleD_xdl_cshuffleIDF16_DF16_DF16_ffNS_5TupleIJDF16_EEEDF16_NS_16tensor_operation12element_wise11PassThroughES6_12AlphaBetaAddLi1ELi256ELi256ELi128ELi32ELi8ELi8ELi16ELi16ELi8ELi2ENS_8SequenceIJLi4ELi64ELi1EEEENS8_IJLi1ELi0ELi2EEEESA_Li2ELi8ELi8ELb0ELi1ES9_SA_SA_Li2ELi8ELi8ELb0ELi1ELi1ELi1ENS8_IJLi1ELi32ELi1ELi8EEEELi4ELNS_13LoopSchedulerE0ELNS_15PipelineVersionE0EDF16_Lb0EEEDF16_DF16_NS2_IJPKDF16_EEEDF16_S6_S6_S7_NS_16TensorDescriptorINS2_IJNS_5EmbedINS2_IJiiEEENS2_IJiNS_17integral_constantIiLi1EEEEEELb0EEENS_8RightPadIiiLb0EEESQ_NS_7UnMergeINS2_IJiNSL_IiLi8EEEEEELb0EEENS_11PassThroughIiEEEEENS2_IJNS8_IJLi0EEEENS8_IJLi1EEEENS8_IJLi2EEEENS8_IJLi4EEEENS8_IJLi3EEEEEEENS2_IJNS8_IJLi1ELi2EEEES12_S11_NS8_IJLi5ELi6EEEENS8_IJLi7EEEEEEENS8_IJLi5ELi7ELi6EEEElEES19_NS2_IJNSI_INS2_IJSO_SQ_SQ_NSR_INS2_IJiNSL_IiLi256EEEEEELb0EEENSR_INS2_IJiNSL_IiLi128EEEEEELb0EEEEEENS2_IJSY_SZ_S10_S12_S11_EEENS2_IJS14_S12_S11_S15_NS8_IJLi7ELi8EEEEEEENS8_IJLi5ELi6ELi7ELi8EEEElEEEEES1L_NS_31BlockToCTileMap_M00_N0_M01AdaptILi256ELi128ENSI_INS2_IJSO_SQ_SQ_EEENS2_IJSY_SZ_S10_EEENS2_IJS14_S12_S11_EEENS8_IJLi3ELi4EEEElEEiEELb0EEEvPKT0_PKT1_T2_PT3_T4_T5_T6_T7_T8_T9_T10_T11_
	.p2align	8
	.type	_ZN2ck35kernel_gemm_multiple_d_xdl_cshuffleINS_34GridwiseGemmMultipleD_xdl_cshuffleIDF16_DF16_DF16_ffNS_5TupleIJDF16_EEEDF16_NS_16tensor_operation12element_wise11PassThroughES6_12AlphaBetaAddLi1ELi256ELi256ELi128ELi32ELi8ELi8ELi16ELi16ELi8ELi2ENS_8SequenceIJLi4ELi64ELi1EEEENS8_IJLi1ELi0ELi2EEEESA_Li2ELi8ELi8ELb0ELi1ES9_SA_SA_Li2ELi8ELi8ELb0ELi1ELi1ELi1ENS8_IJLi1ELi32ELi1ELi8EEEELi4ELNS_13LoopSchedulerE0ELNS_15PipelineVersionE0EDF16_Lb0EEEDF16_DF16_NS2_IJPKDF16_EEEDF16_S6_S6_S7_NS_16TensorDescriptorINS2_IJNS_5EmbedINS2_IJiiEEENS2_IJiNS_17integral_constantIiLi1EEEEEELb0EEENS_8RightPadIiiLb0EEESQ_NS_7UnMergeINS2_IJiNSL_IiLi8EEEEEELb0EEENS_11PassThroughIiEEEEENS2_IJNS8_IJLi0EEEENS8_IJLi1EEEENS8_IJLi2EEEENS8_IJLi4EEEENS8_IJLi3EEEEEEENS2_IJNS8_IJLi1ELi2EEEES12_S11_NS8_IJLi5ELi6EEEENS8_IJLi7EEEEEEENS8_IJLi5ELi7ELi6EEEElEES19_NS2_IJNSI_INS2_IJSO_SQ_SQ_NSR_INS2_IJiNSL_IiLi256EEEEEELb0EEENSR_INS2_IJiNSL_IiLi128EEEEEELb0EEEEEENS2_IJSY_SZ_S10_S12_S11_EEENS2_IJS14_S12_S11_S15_NS8_IJLi7ELi8EEEEEEENS8_IJLi5ELi6ELi7ELi8EEEElEEEEES1L_NS_31BlockToCTileMap_M00_N0_M01AdaptILi256ELi128ENSI_INS2_IJSO_SQ_SQ_EEENS2_IJSY_SZ_S10_EEENS2_IJS14_S12_S11_EEENS8_IJLi3ELi4EEEElEEiEELb0EEEvPKT0_PKT1_T2_PT3_T4_T5_T6_T7_T8_T9_T10_T11_,@function
_ZN2ck35kernel_gemm_multiple_d_xdl_cshuffleINS_34GridwiseGemmMultipleD_xdl_cshuffleIDF16_DF16_DF16_ffNS_5TupleIJDF16_EEEDF16_NS_16tensor_operation12element_wise11PassThroughES6_12AlphaBetaAddLi1ELi256ELi256ELi128ELi32ELi8ELi8ELi16ELi16ELi8ELi2ENS_8SequenceIJLi4ELi64ELi1EEEENS8_IJLi1ELi0ELi2EEEESA_Li2ELi8ELi8ELb0ELi1ES9_SA_SA_Li2ELi8ELi8ELb0ELi1ELi1ELi1ENS8_IJLi1ELi32ELi1ELi8EEEELi4ELNS_13LoopSchedulerE0ELNS_15PipelineVersionE0EDF16_Lb0EEEDF16_DF16_NS2_IJPKDF16_EEEDF16_S6_S6_S7_NS_16TensorDescriptorINS2_IJNS_5EmbedINS2_IJiiEEENS2_IJiNS_17integral_constantIiLi1EEEEEELb0EEENS_8RightPadIiiLb0EEESQ_NS_7UnMergeINS2_IJiNSL_IiLi8EEEEEELb0EEENS_11PassThroughIiEEEEENS2_IJNS8_IJLi0EEEENS8_IJLi1EEEENS8_IJLi2EEEENS8_IJLi4EEEENS8_IJLi3EEEEEEENS2_IJNS8_IJLi1ELi2EEEES12_S11_NS8_IJLi5ELi6EEEENS8_IJLi7EEEEEEENS8_IJLi5ELi7ELi6EEEElEES19_NS2_IJNSI_INS2_IJSO_SQ_SQ_NSR_INS2_IJiNSL_IiLi256EEEEEELb0EEENSR_INS2_IJiNSL_IiLi128EEEEEELb0EEEEEENS2_IJSY_SZ_S10_S12_S11_EEENS2_IJS14_S12_S11_S15_NS8_IJLi7ELi8EEEEEEENS8_IJLi5ELi6ELi7ELi8EEEElEEEEES1L_NS_31BlockToCTileMap_M00_N0_M01AdaptILi256ELi128ENSI_INS2_IJSO_SQ_SQ_EEENS2_IJSY_SZ_S10_EEENS2_IJS14_S12_S11_EEENS8_IJLi3ELi4EEEElEEiEELb0EEEvPKT0_PKT1_T2_PT3_T4_T5_T6_T7_T8_T9_T10_T11_: ; @_ZN2ck35kernel_gemm_multiple_d_xdl_cshuffleINS_34GridwiseGemmMultipleD_xdl_cshuffleIDF16_DF16_DF16_ffNS_5TupleIJDF16_EEEDF16_NS_16tensor_operation12element_wise11PassThroughES6_12AlphaBetaAddLi1ELi256ELi256ELi128ELi32ELi8ELi8ELi16ELi16ELi8ELi2ENS_8SequenceIJLi4ELi64ELi1EEEENS8_IJLi1ELi0ELi2EEEESA_Li2ELi8ELi8ELb0ELi1ES9_SA_SA_Li2ELi8ELi8ELb0ELi1ELi1ELi1ENS8_IJLi1ELi32ELi1ELi8EEEELi4ELNS_13LoopSchedulerE0ELNS_15PipelineVersionE0EDF16_Lb0EEEDF16_DF16_NS2_IJPKDF16_EEEDF16_S6_S6_S7_NS_16TensorDescriptorINS2_IJNS_5EmbedINS2_IJiiEEENS2_IJiNS_17integral_constantIiLi1EEEEEELb0EEENS_8RightPadIiiLb0EEESQ_NS_7UnMergeINS2_IJiNSL_IiLi8EEEEEELb0EEENS_11PassThroughIiEEEEENS2_IJNS8_IJLi0EEEENS8_IJLi1EEEENS8_IJLi2EEEENS8_IJLi4EEEENS8_IJLi3EEEEEEENS2_IJNS8_IJLi1ELi2EEEES12_S11_NS8_IJLi5ELi6EEEENS8_IJLi7EEEEEEENS8_IJLi5ELi7ELi6EEEElEES19_NS2_IJNSI_INS2_IJSO_SQ_SQ_NSR_INS2_IJiNSL_IiLi256EEEEEELb0EEENSR_INS2_IJiNSL_IiLi128EEEEEELb0EEEEEENS2_IJSY_SZ_S10_S12_S11_EEENS2_IJS14_S12_S11_S15_NS8_IJLi7ELi8EEEEEEENS8_IJLi5ELi6ELi7ELi8EEEElEEEEES1L_NS_31BlockToCTileMap_M00_N0_M01AdaptILi256ELi128ENSI_INS2_IJSO_SQ_SQ_EEENS2_IJSY_SZ_S10_EEENS2_IJS14_S12_S11_EEENS8_IJLi3ELi4EEEElEEiEELb0EEEvPKT0_PKT1_T2_PT3_T4_T5_T6_T7_T8_T9_T10_T11_
; %bb.0:
	s_clause 0x1
	s_load_b96 s[4:6], s[0:1], 0x160
	s_load_b32 s23, s[0:1], 0xb8
	s_abs_i32 s9, ttmp9
	s_load_b32 s20, s[0:1], 0x38
	v_and_b32_e32 v26, 0xfc, v0
	v_and_b32_e32 v27, 3, v0
	v_lshrrev_b32_e32 v29, 1, v0
	s_mov_b32 s19, 0x31004000
	v_lshrrev_b32_e32 v65, 3, v0
	s_delay_alu instid0(VALU_DEP_3) | instskip(NEXT) | instid1(VALU_DEP_3)
	v_lshlrev_b32_e32 v25, 3, v27
	v_and_b32_e32 v30, 0x7e, v29
	s_wait_kmcnt 0x0
	s_add_co_i32 s2, s4, 0xff
	s_add_co_i32 s3, s5, 0x7f
	s_ashr_i32 s4, s2, 31
	s_ashr_i32 s5, s3, 31
	s_lshr_b32 s4, s4, 24
	s_lshr_b32 s5, s5, 25
	s_add_co_i32 s2, s2, s4
	s_add_co_i32 s3, s3, s5
	s_ashr_i32 s4, s2, 8
	s_ashr_i32 s3, s3, 7
	s_delay_alu instid0(SALU_CYCLE_1) | instskip(NEXT) | instid1(SALU_CYCLE_1)
	s_mul_i32 s5, s3, s4
	s_abs_i32 s5, s5
	s_delay_alu instid0(SALU_CYCLE_1) | instskip(SKIP_1) | instid1(SALU_CYCLE_2)
	s_cvt_f32_u32 s7, s5
	s_sub_co_i32 s8, 0, s5
	v_rcp_iflag_f32_e32 v1, s7
	s_delay_alu instid0(TRANS32_DEP_1) | instskip(SKIP_2) | instid1(SALU_CYCLE_2)
	v_readfirstlane_b32 s7, v1
	s_mul_f32 s7, s7, 0x4f7ffffe
	s_wait_alu 0xfffe
	s_cvt_u32_f32 s7, s7
	s_wait_alu 0xfffe
	s_delay_alu instid0(SALU_CYCLE_2) | instskip(NEXT) | instid1(SALU_CYCLE_1)
	s_mul_i32 s8, s8, s7
	s_mul_hi_u32 s8, s7, s8
	s_delay_alu instid0(SALU_CYCLE_1)
	s_add_co_i32 s7, s7, s8
	s_ashr_i32 s8, ttmp9, 31
	s_wait_alu 0xfffe
	s_mul_hi_u32 s7, s9, s7
	s_wait_alu 0xfffe
	s_mul_i32 s7, s7, s5
	s_wait_alu 0xfffe
	s_sub_co_i32 s7, s9, s7
	s_wait_alu 0xfffe
	s_sub_co_i32 s9, s7, s5
	s_cmp_ge_u32 s7, s5
	s_cselect_b32 s7, s9, s7
	s_wait_alu 0xfffe
	s_sub_co_i32 s9, s7, s5
	s_cmp_ge_u32 s7, s5
	s_cselect_b32 s5, s9, s7
	s_abs_i32 s7, s3
	s_xor_b32 s5, s5, s8
	s_wait_alu 0xfffe
	s_cvt_f32_u32 s9, s7
	s_sub_co_i32 s10, 0, s7
	s_sub_co_i32 s5, s5, s8
	s_delay_alu instid0(SALU_CYCLE_1) | instskip(NEXT) | instid1(TRANS32_DEP_1)
	v_rcp_iflag_f32_e32 v1, s9
	v_readfirstlane_b32 s9, v1
	s_mul_f32 s9, s9, 0x4f7ffffe
	s_wait_alu 0xfffe
	s_delay_alu instid0(SALU_CYCLE_2) | instskip(SKIP_1) | instid1(SALU_CYCLE_2)
	s_cvt_u32_f32 s9, s9
	s_wait_alu 0xfffe
	s_mul_i32 s10, s10, s9
	s_delay_alu instid0(SALU_CYCLE_1)
	s_mul_hi_u32 s8, s9, s10
	s_abs_i32 s10, s5
	s_wait_alu 0xfffe
	s_add_co_i32 s9, s9, s8
	s_wait_alu 0xfffe
	s_mul_hi_u32 s8, s10, s9
	s_xor_b32 s9, s5, s3
	s_wait_alu 0xfffe
	s_mul_i32 s11, s8, s7
	s_ashr_i32 s9, s9, 31
	s_sub_co_i32 s10, s10, s11
	s_add_co_i32 s11, s8, 1
	s_sub_co_i32 s12, s10, s7
	s_cmp_ge_u32 s10, s7
	s_cselect_b32 s8, s11, s8
	s_cselect_b32 s10, s12, s10
	s_wait_alu 0xfffe
	s_add_co_i32 s11, s8, 1
	s_cmp_ge_u32 s10, s7
	s_cselect_b32 s7, s11, s8
	s_abs_i32 s8, s6
	s_abs_i32 s12, s4
	s_wait_alu 0xfffe
	s_cvt_f32_u32 s10, s8
	s_sub_co_i32 s11, 0, s8
	s_xor_b32 s7, s7, s9
	s_ashr_i32 s2, s2, 31
	v_rcp_iflag_f32_e32 v1, s10
	s_wait_alu 0xfffe
	s_sub_co_i32 s7, s7, s9
	s_delay_alu instid0(TRANS32_DEP_1) | instskip(SKIP_2) | instid1(SALU_CYCLE_2)
	v_readfirstlane_b32 s10, v1
	s_mul_f32 s10, s10, 0x4f7ffffe
	s_wait_alu 0xfffe
	s_cvt_u32_f32 s10, s10
	s_wait_alu 0xfffe
	s_delay_alu instid0(SALU_CYCLE_2)
	s_mul_i32 s11, s11, s10
	s_wait_alu 0xfffe
	s_mul_hi_u32 s11, s10, s11
	s_wait_alu 0xfffe
	s_add_co_i32 s10, s10, s11
	s_wait_alu 0xfffe
	s_mul_hi_u32 s11, s12, s10
	s_wait_alu 0xfffe
	s_mul_i32 s11, s11, s8
	s_wait_alu 0xfffe
	s_sub_co_i32 s11, s12, s11
	s_wait_alu 0xfffe
	s_sub_co_i32 s9, s11, s8
	s_cmp_ge_u32 s11, s8
	s_wait_alu 0xfffe
	s_cselect_b32 s9, s9, s11
	s_wait_alu 0xfffe
	s_sub_co_i32 s11, s9, s8
	s_cmp_ge_u32 s9, s8
	s_wait_alu 0xfffe
	s_cselect_b32 s9, s11, s9
	s_wait_alu 0xfffe
	s_xor_b32 s9, s9, s2
	s_wait_alu 0xfffe
	s_sub_co_i32 s2, s9, s2
	s_mul_i32 s9, s7, s3
	s_sub_co_i32 s4, s4, s2
	s_delay_alu instid0(SALU_CYCLE_1)
	s_cmp_lt_i32 s7, s4
	s_cselect_b32 s2, s6, s2
	s_abs_i32 s4, s7
	s_wait_alu 0xfffe
	s_sub_co_i32 s5, s5, s9
	s_mul_hi_u32 s6, s4, s10
	s_wait_alu 0xfffe
	s_mul_i32 s6, s6, s8
	s_wait_alu 0xfffe
	s_sub_co_i32 s4, s4, s6
	s_ashr_i32 s6, s7, 31
	s_sub_co_i32 s9, s4, s8
	s_cmp_ge_u32 s4, s8
	s_wait_alu 0xfffe
	s_cselect_b32 s4, s9, s4
	s_delay_alu instid0(SALU_CYCLE_1)
	s_sub_co_i32 s9, s4, s8
	s_cmp_ge_u32 s4, s8
	s_wait_alu 0xfffe
	s_cselect_b32 s4, s9, s4
	s_abs_i32 s8, s2
	s_xor_b32 s4, s4, s6
	s_wait_alu 0xfffe
	s_cvt_f32_u32 s9, s8
	s_sub_co_i32 s4, s4, s6
	s_sub_co_i32 s6, 0, s8
	s_mul_i32 s3, s4, s3
	s_wait_alu 0xfffe
	v_rcp_iflag_f32_e32 v1, s9
	s_add_co_i32 s5, s3, s5
	s_delay_alu instid0(TRANS32_DEP_1) | instskip(SKIP_2) | instid1(SALU_CYCLE_2)
	v_readfirstlane_b32 s9, v1
	s_mul_f32 s9, s9, 0x4f7ffffe
	s_wait_alu 0xfffe
	s_cvt_u32_f32 s9, s9
	s_wait_alu 0xfffe
	s_delay_alu instid0(SALU_CYCLE_2)
	s_mul_i32 s6, s6, s9
	s_wait_alu 0xfffe
	s_mul_hi_u32 s3, s9, s6
	s_abs_i32 s6, s5
	s_add_co_i32 s9, s9, s3
	s_wait_alu 0xfffe
	s_mul_hi_u32 s3, s6, s9
	s_xor_b32 s9, s5, s2
	s_mul_i32 s10, s3, s8
	s_wait_alu 0xfffe
	s_ashr_i32 s16, s9, 31
	s_sub_co_i32 s6, s6, s10
	s_add_co_i32 s9, s3, 1
	s_wait_alu 0xfffe
	s_sub_co_i32 s10, s6, s8
	s_cmp_ge_u32 s6, s8
	s_cselect_b32 s3, s9, s3
	s_wait_alu 0xfffe
	s_cselect_b32 s6, s10, s6
	s_add_co_i32 s9, s3, 1
	s_wait_alu 0xfffe
	s_cmp_ge_u32 s6, s8
	s_cselect_b32 s3, s9, s3
	s_sub_co_i32 s4, s7, s4
	s_xor_b32 s3, s3, s16
	s_load_b256 s[8:15], s[0:1], 0x0
	s_sub_co_i32 s3, s3, s16
	s_load_b32 s7, s[0:1], 0x70
	s_mul_i32 s2, s3, s2
	v_lshl_or_b32 v31, s3, 7, v30
	s_sub_co_i32 s2, s5, s2
	s_wait_alu 0xfffe
	s_add_co_i32 s4, s4, s2
	s_clause 0x4
	s_load_b32 s21, s[0:1], 0x44
	s_load_b32 s2, s[0:1], 0x50
	;; [unrolled: 1-line block ×5, first 2 shown]
	v_lshl_or_b32 v28, s4, 8, v26
	v_lshl_or_b32 v66, s4, 8, v65
	s_delay_alu instid0(VALU_DEP_2) | instskip(SKIP_3) | instid1(VALU_DEP_1)
	v_mad_co_u64_u32 v[1:2], null, v28, s20, v[25:26]
	s_wait_kmcnt 0x0
	s_mov_b32 s16, s8
	s_and_b32 s17, s9, 0xffff
	v_add_nc_u32_e32 v2, s20, v1
	v_lshlrev_b32_e32 v1, 1, v1
	s_lshl_b32 s18, s7, 1
	v_cmp_gt_i32_e32 vcc_lo, s2, v25
	v_mad_co_u64_u32 v[17:18], null, v31, s22, v[25:26]
	v_add_nc_u32_e32 v9, s20, v2
	v_lshlrev_b32_e32 v5, 1, v2
	buffer_load_b128 v[1:4], v1, s[16:19], null offen
	v_cmp_gt_i32_e64 s2, s6, v25
	v_or_b32_e32 v25, 2, v28
	v_lshlrev_b32_e32 v10, 1, v9
	v_add_lshl_u32 v13, v9, s20, 1
	buffer_load_b128 v[5:8], v5, s[16:19], null offen
	v_add_lshl_u32 v21, v17, s22, 1
	v_cmp_gt_i32_e64 s7, s21, v25
	buffer_load_b128 v[9:12], v10, s[16:19], null offen
	s_clause 0x6
	s_load_b32 s26, s[0:1], 0xc8
	s_load_b32 s24, s[0:1], 0xd4
	;; [unrolled: 1-line block ×7, first 2 shown]
	buffer_load_b128 v[13:16], v13, s[16:19], null offen
	s_and_b32 s17, s11, 0xffff
	s_mov_b32 s16, s10
	s_load_b64 s[10:11], s[0:1], 0x24
	v_lshlrev_b32_e32 v18, 1, v17
	s_lshl_b32 s18, s23, 1
	s_clause 0x1
	buffer_load_b128 v[17:20], v18, s[16:19], null offen
	buffer_load_b128 v[21:24], v21, s[16:19], null offen
	v_and_b32_e32 v32, 15, v0
	v_and_b32_e32 v33, 0x80, v0
	v_lshlrev_b32_e32 v34, 3, v0
	v_lshlrev_b32_e32 v0, 1, v0
	v_and_b32_e32 v35, 2, v65
	v_lshlrev_b32_e32 v37, 4, v32
	v_and_b32_e32 v29, 8, v29
	v_and_b32_e32 v91, 56, v34
	;; [unrolled: 1-line block ×3, first 2 shown]
	s_wait_kmcnt 0x0
	s_lshl_b32 s18, s20, 1
	v_lshl_or_b32 v0, v33, 1, v37
	v_and_or_b32 v29, v65, 16, v29
	v_lshl_or_b32 v99, s3, 7, v91
	v_cmp_gt_i32_e64 s3, s5, v31
	s_and_b32 s17, s13, 0xffff
	v_mad_u32_u24 v92, 0x1010, v35, v0
	v_or_b32_e32 v0, 1, v31
	v_mad_co_u64_u32 v[100:101], null, v66, s26, v[99:100]
	v_lshlrev_b32_e32 v29, 8, v29
	s_mov_b32 s16, s12
	s_delay_alu instid0(VALU_DEP_3)
	v_cmp_gt_i32_e64 s4, s5, v0
	v_or_b32_e32 v0, 1, v28
	v_cmp_gt_i32_e64 s5, s21, v28
	v_or_b32_e32 v28, 3, v28
	v_lshlrev_b32_e32 v106, 1, v100
	v_mad_co_u64_u32 v[101:102], null, v66, s9, v[99:100]
	v_cmp_gt_i32_e64 s6, s21, v0
	s_delay_alu instid0(VALU_DEP_4)
	v_cmp_gt_i32_e64 s8, s21, v28
	s_and_b32 s5, vcc_lo, s5
	v_add_nc_u32_e32 v108, 64, v100
	s_mov_b32 s23, s19
	s_mov_b32 s20, s14
	v_lshlrev_b32_e32 v107, 1, v101
	s_and_b32 s21, s15, 0xffff
	s_lshl_b32 s12, s26, 5
	s_lshl_b32 s13, s9, 5
	s_wait_loadcnt 0x5
	s_wait_alu 0xfffe
	v_cndmask_b32_e64 v4, 0, v4, s5
	v_cndmask_b32_e64 v3, 0, v3, s5
	v_cndmask_b32_e64 v2, 0, v2, s5
	v_cndmask_b32_e64 v1, 0, v1, s5
	s_and_b32 s5, vcc_lo, s6
	s_wait_loadcnt 0x4
	s_wait_alu 0xfffe
	v_cndmask_b32_e64 v8, 0, v8, s5
	v_cndmask_b32_e64 v7, 0, v7, s5
	;; [unrolled: 1-line block ×4, first 2 shown]
	s_and_b32 s5, vcc_lo, s7
	s_and_b32 vcc_lo, vcc_lo, s8
	s_wait_loadcnt 0x3
	s_wait_alu 0xfffe
	v_cndmask_b32_e64 v12, 0, v12, s5
	s_wait_loadcnt 0x2
	v_dual_cndmask_b32 v16, 0, v16 :: v_dual_cndmask_b32 v15, 0, v15
	v_dual_cndmask_b32 v14, 0, v14 :: v_dual_cndmask_b32 v13, 0, v13
	s_and_b32 vcc_lo, s2, s3
	v_lshlrev_b32_e32 v26, 4, v26
	v_mul_u32_u24_e32 v36, 0x810, v27
	s_wait_loadcnt 0x1
	s_wait_alu 0xfffe
	v_cndmask_b32_e32 v17, 0, v17, vcc_lo
	v_and_or_b32 v33, 0x300, v34, v37
	v_dual_cndmask_b32 v20, 0, v20 :: v_dual_cndmask_b32 v19, 0, v19
	v_cndmask_b32_e32 v18, 0, v18, vcc_lo
	s_and_b32 vcc_lo, s2, s4
	v_mad_u32_u24 v26, 0x1010, v27, v26
	s_wait_loadcnt 0x0
	s_wait_alu 0xfffe
	v_cndmask_b32_e32 v23, 0, v23, vcc_lo
	v_lshl_add_u32 v27, v30, 4, v36
	v_cndmask_b32_e32 v22, 0, v22, vcc_lo
	v_mad_u32_u24 v30, 0x810, v35, v33
	v_cndmask_b32_e64 v11, 0, v11, s5
	v_cndmask_b32_e64 v10, 0, v10, s5
	;; [unrolled: 1-line block ×3, first 2 shown]
	v_dual_cndmask_b32 v24, 0, v24 :: v_dual_cndmask_b32 v21, 0, v21
	ds_store_b128 v26, v[1:4]
	ds_store_b128 v26, v[5:8] offset:16
	ds_store_b128 v26, v[9:12] offset:32
	;; [unrolled: 1-line block ×5, first 2 shown]
	s_wait_dscnt 0x0
	s_barrier_signal -1
	s_barrier_wait -1
	ds_load_b128 v[75:78], v92
	ds_load_b128 v[0:3], v30 offset:16432
	ds_load_b128 v[79:82], v92 offset:4112
	;; [unrolled: 1-line block ×3, first 2 shown]
	v_lshlrev_b32_e32 v32, 2, v32
	s_load_b32 s2, s[0:1], 0x158
	v_cmp_gt_i32_e32 vcc_lo, s28, v99
	v_cmp_gt_i32_e64 s4, s25, v66
	v_cmp_gt_i32_e64 s0, s27, v99
	v_or3_b32 v64, v38, v29, v32
	ds_load_b128 v[20:23], v30 offset:17456
	ds_load_b128 v[16:19], v30 offset:19520
	;; [unrolled: 1-line block ×16, first 2 shown]
	s_wait_dscnt 0x0
	s_barrier_signal -1
	s_barrier_wait -1
	v_cmp_gt_i32_e64 s7, s24, v66
	s_and_b32 s1, vcc_lo, s4
	s_and_b32 s3, s0, s7
	v_wmma_f32_16x16x16_f16 v[67:74], v[75:78], v[0:3], 0
	s_wait_kmcnt 0x0
	s_lshl_b32 s22, s2, 1
	s_delay_alu instid0(VALU_DEP_1)
	v_wmma_f32_16x16x16_f16 v[67:74], v[79:82], v[4:7], v[67:74]
	ds_store_2addr_stride64_b32 v64, v67, v68 offset1:1
	ds_store_2addr_stride64_b32 v64, v69, v70 offset0:2 offset1:3
	ds_store_2addr_stride64_b32 v64, v71, v72 offset0:4 offset1:5
	;; [unrolled: 1-line block ×3, first 2 shown]
	s_wait_dscnt 0x0
	s_barrier_signal -1
	s_barrier_wait -1
	buffer_load_b128 v[67:70], v106, s[16:19], null offen
	v_lshlrev_b32_e32 v71, 2, v91
	v_cndmask_b32_e64 v72, 0x80000000, 0, s1
	s_delay_alu instid0(VALU_DEP_2)
	v_lshl_or_b32 v65, v65, 8, v71
	v_or_b32_e32 v71, 4, v99
	ds_load_b128 v[91:94], v65
	ds_load_b128 v[95:98], v65 offset:16
	v_cmp_gt_i32_e64 s2, s28, v71
	v_add_nc_u32_e32 v109, v72, v107
	s_and_b32 s1, s4, s2
	s_wait_alu 0xfffe
	v_cndmask_b32_e64 v73, 0x80000000, 0, s1
	v_cmp_gt_i32_e64 s1, s27, v71
	s_wait_loadcnt 0x0
	v_cndmask_b32_e64 v68, 0, v68, s3
	v_cndmask_b32_e64 v67, 0, v67, s3
	s_and_b32 s3, s7, s1
	s_wait_alu 0xfffe
	v_cndmask_b32_e64 v70, 0, v70, s3
	v_cndmask_b32_e64 v69, 0, v69, s3
	v_cvt_f32_f16_e32 v72, v68
	v_lshrrev_b32_e32 v68, 16, v68
	v_cvt_f32_f16_e32 v71, v67
	v_lshrrev_b32_e32 v67, 16, v67
	;; [unrolled: 2-line block ×3, first 2 shown]
	v_cvt_f32_f16_e32 v68, v68
	v_add_nc_u32_e32 v110, v107, v73
	v_cvt_f32_f16_e32 v73, v69
	v_lshrrev_b32_e32 v69, 16, v69
	v_mul_f32_e32 v71, s11, v71
	v_cvt_f32_f16_e32 v67, v67
	s_delay_alu instid0(VALU_DEP_4) | instskip(NEXT) | instid1(VALU_DEP_4)
	v_dual_mul_f32 v72, s11, v72 :: v_dual_mul_f32 v73, s11, v73
	v_cvt_f32_f16_e32 v69, v69
	v_mul_f32_e32 v74, s11, v74
	v_cvt_f32_f16_e32 v70, v70
	s_wait_dscnt 0x1
	v_fma_mixlo_f16 v102, s10, v91, v71
	v_mul_f32_e32 v91, s11, v67
	v_fma_mixlo_f16 v103, s10, v93, v72
	v_mul_f32_e32 v93, s11, v68
	s_wait_dscnt 0x0
	v_fma_mixlo_f16 v104, s10, v95, v73
	v_mul_f32_e32 v95, s11, v69
	v_fma_mixlo_f16 v105, s10, v97, v74
	v_mul_f32_e32 v97, s11, v70
	v_wmma_f32_16x16x16_f16 v[67:74], v[75:78], v[20:23], 0
	v_fma_mixhi_f16 v103, s10, v94, v93
	v_fma_mixhi_f16 v102, s10, v92, v91
	v_lshlrev_b32_e32 v75, 1, v108
	s_delay_alu instid0(VALU_DEP_4)
	v_wmma_f32_16x16x16_f16 v[67:74], v[79:82], v[16:19], v[67:74]
	v_fma_mixhi_f16 v105, s10, v98, v97
	v_fma_mixhi_f16 v104, s10, v96, v95
	s_clause 0x1
	buffer_store_b64 v[102:103], v109, s[20:23], null offen
	buffer_store_b64 v[104:105], v110, s[20:23], null offen offset:8
	s_wait_dscnt 0x0
	s_barrier_signal -1
	s_barrier_wait -1
	ds_store_2addr_stride64_b32 v64, v67, v68 offset1:1
	ds_store_2addr_stride64_b32 v64, v69, v70 offset0:2 offset1:3
	ds_store_2addr_stride64_b32 v64, v71, v72 offset0:4 offset1:5
	;; [unrolled: 1-line block ×3, first 2 shown]
	s_wait_dscnt 0x0
	s_barrier_signal -1
	s_barrier_wait -1
	s_clause 0x1
	buffer_load_b64 v[67:68], v75, s[16:19], null offen
	buffer_load_b64 v[69:70], v106, s[16:19], null offen offset:136
	v_or_b32_e32 v71, 64, v99
	v_or_b32_e32 v72, 0x44, v99
	s_delay_alu instid0(VALU_DEP_2) | instskip(NEXT) | instid1(VALU_DEP_2)
	v_cmp_gt_i32_e64 s6, s28, v71
	v_cmp_gt_i32_e64 s3, s28, v72
	s_and_b32 s5, s4, s6
	s_and_b32 s4, s4, s3
	s_wait_alu 0xfffe
	v_cndmask_b32_e64 v73, 0x80000000, 0, s5
	v_cndmask_b32_e64 v74, 0x80000000, 0, s4
	v_cmp_gt_i32_e64 s4, s27, v71
	v_cmp_gt_i32_e64 s5, s27, v72
	s_delay_alu instid0(VALU_DEP_3)
	v_add_nc_u32_e32 v96, v107, v74
	s_and_b32 s8, s7, s4
	ds_load_b128 v[74:77], v65
	ds_load_b128 v[78:81], v65 offset:16
	s_and_b32 s7, s7, s5
	s_wait_loadcnt 0x1
	s_wait_alu 0xfffe
	v_cndmask_b32_e64 v67, 0, v67, s8
	v_cndmask_b32_e64 v68, 0, v68, s8
	s_wait_loadcnt 0x0
	v_cndmask_b32_e64 v70, 0, v70, s7
	v_cndmask_b32_e64 v69, 0, v69, s7
	v_cvt_f32_f16_e32 v71, v67
	v_lshrrev_b32_e32 v67, 16, v67
	v_cvt_f32_f16_e32 v72, v68
	v_lshrrev_b32_e32 v68, 16, v68
	;; [unrolled: 2-line block ×3, first 2 shown]
	v_cvt_f32_f16_e32 v67, v67
	v_dual_mul_f32 v71, s11, v71 :: v_dual_add_nc_u32 v82, 64, v101
	v_mul_f32_e32 v72, s11, v72
	v_cvt_f32_f16_e32 v68, v68
	s_delay_alu instid0(VALU_DEP_4) | instskip(NEXT) | instid1(VALU_DEP_4)
	v_mul_f32_e32 v97, s11, v67
	v_lshl_add_u32 v95, v82, 1, v73
	v_cvt_f32_f16_e32 v73, v69
	v_lshrrev_b32_e32 v69, 16, v69
	v_mul_f32_e32 v94, s11, v91
	v_cvt_f32_f16_e32 v70, v70
	s_wait_dscnt 0x1
	v_fma_mixlo_f16 v91, s10, v74, v71
	v_mul_f32_e32 v73, s11, v73
	v_cvt_f32_f16_e32 v69, v69
	v_fma_mixlo_f16 v92, s10, v76, v72
	v_mul_f32_e32 v76, s11, v68
	s_wait_dscnt 0x0
	v_fma_mixlo_f16 v94, s10, v80, v94
	v_fma_mixlo_f16 v93, s10, v78, v73
	v_mul_f32_e32 v78, s11, v69
	v_mul_f32_e32 v80, s11, v70
	v_wmma_f32_16x16x16_f16 v[67:74], v[83:86], v[20:23], 0
	v_fma_mixhi_f16 v92, s10, v77, v76
	v_fma_mixhi_f16 v91, s10, v75, v97
	v_add_lshl_u32 v75, v108, s12, 1
	s_delay_alu instid0(VALU_DEP_4)
	v_wmma_f32_16x16x16_f16 v[67:74], v[87:90], v[16:19], v[67:74]
	v_fma_mixhi_f16 v94, s10, v81, v80
	v_fma_mixhi_f16 v93, s10, v79, v78
	s_clause 0x1
	buffer_store_b64 v[91:92], v95, s[20:23], null offen
	buffer_store_b64 v[93:94], v96, s[20:23], null offen offset:136
	s_wait_dscnt 0x0
	s_barrier_signal -1
	s_barrier_wait -1
	ds_store_2addr_stride64_b32 v64, v67, v68 offset1:1
	ds_store_2addr_stride64_b32 v64, v69, v70 offset0:2 offset1:3
	ds_store_2addr_stride64_b32 v64, v71, v72 offset0:4 offset1:5
	;; [unrolled: 1-line block ×3, first 2 shown]
	s_wait_dscnt 0x0
	s_barrier_signal -1
	s_barrier_wait -1
	buffer_load_b128 v[67:70], v75, s[16:19], null offen
	v_or_b32_e32 v71, 32, v66
	v_add_lshl_u32 v73, v82, s13, 1
	s_delay_alu instid0(VALU_DEP_2)
	v_cmp_gt_i32_e64 s7, s25, v71
	s_and_b32 s8, s6, s7
	s_wait_alu 0xfffe
	v_cndmask_b32_e64 v72, 0x80000000, 0, s8
	s_and_b32 s8, s3, s7
	s_wait_alu 0xfffe
	v_cndmask_b32_e64 v74, 0x80000008, 8, s8
	v_cmp_gt_i32_e64 s8, s24, v71
	v_add_nc_u32_e32 v95, v73, v72
	s_and_b32 s9, s4, s8
	s_wait_loadcnt 0x0
	s_wait_alu 0xfffe
	v_cndmask_b32_e64 v67, 0, v67, s9
	v_cndmask_b32_e64 v68, 0, v68, s9
	s_and_b32 s9, s5, s8
	s_wait_alu 0xfffe
	v_cndmask_b32_e64 v70, 0, v70, s9
	v_cvt_f32_f16_e32 v71, v67
	v_lshrrev_b32_e32 v67, 16, v67
	v_cndmask_b32_e64 v69, 0, v69, s9
	v_cvt_f32_f16_e32 v72, v68
	v_lshrrev_b32_e32 v68, 16, v68
	v_cvt_f32_f16_e32 v91, v70
	v_cvt_f32_f16_e32 v67, v67
	v_add_nc_u32_e32 v96, v74, v73
	ds_load_b128 v[74:77], v65
	ds_load_b128 v[78:81], v65 offset:16
	v_cvt_f32_f16_e32 v73, v69
	v_lshrrev_b32_e32 v69, 16, v69
	v_lshrrev_b32_e32 v70, 16, v70
	v_dual_mul_f32 v71, s11, v71 :: v_dual_add_nc_u32 v82, s12, v100
	v_mul_f32_e32 v72, s11, v72
	v_cvt_f32_f16_e32 v68, v68
	v_mul_f32_e32 v73, s11, v73
	v_cvt_f32_f16_e32 v69, v69
	;; [unrolled: 2-line block ×3, first 2 shown]
	v_mul_f32_e32 v97, s11, v67
	s_and_b32 s9, vcc_lo, s7
	s_and_b32 s7, s2, s7
	s_wait_dscnt 0x1
	v_fma_mixlo_f16 v91, s10, v74, v71
	v_fma_mixlo_f16 v92, s10, v76, v72
	v_mul_f32_e32 v76, s11, v68
	s_wait_dscnt 0x0
	v_fma_mixlo_f16 v93, s10, v78, v73
	v_mul_f32_e32 v78, s11, v69
	v_fma_mixlo_f16 v94, s10, v80, v94
	v_mul_f32_e32 v80, s11, v70
	v_wmma_f32_16x16x16_f16 v[67:74], v[83:86], v[0:3], 0
	v_fma_mixhi_f16 v91, s10, v75, v97
	v_lshlrev_b32_e32 v75, 1, v82
	v_fma_mixhi_f16 v92, s10, v77, v76
	s_delay_alu instid0(VALU_DEP_4)
	v_wmma_f32_16x16x16_f16 v[67:74], v[87:90], v[4:7], v[67:74]
	v_fma_mixhi_f16 v94, s10, v81, v80
	v_fma_mixhi_f16 v93, s10, v79, v78
	s_clause 0x1
	buffer_store_b64 v[91:92], v95, s[20:23], null offen
	buffer_store_b64 v[93:94], v96, s[20:23], null offen
	s_wait_dscnt 0x0
	s_barrier_signal -1
	s_barrier_wait -1
	ds_store_2addr_stride64_b32 v64, v67, v68 offset1:1
	ds_store_2addr_stride64_b32 v64, v69, v70 offset0:2 offset1:3
	ds_store_2addr_stride64_b32 v64, v71, v72 offset0:4 offset1:5
	;; [unrolled: 1-line block ×3, first 2 shown]
	s_wait_dscnt 0x0
	s_barrier_signal -1
	s_barrier_wait -1
	buffer_load_b128 v[67:70], v75, s[16:19], null offen
	v_add_nc_u32_e32 v86, s13, v101
	v_cndmask_b32_e64 v73, 0x80000000, 0, s7
	s_and_b32 s7, s0, s8
	ds_load_b128 v[74:77], v65
	ds_load_b128 v[78:81], v65 offset:16
	v_cndmask_b32_e64 v71, 0x80000000, 0, s9
	v_lshlrev_b32_e32 v72, 1, v86
	s_delay_alu instid0(VALU_DEP_1)
	v_add_nc_u32_e32 v89, v72, v73
	s_wait_loadcnt 0x0
	s_wait_alu 0xfffe
	v_cndmask_b32_e64 v68, 0, v68, s7
	v_cndmask_b32_e64 v67, 0, v67, s7
	s_and_b32 s7, s1, s8
	s_wait_alu 0xfffe
	v_cndmask_b32_e64 v69, 0, v69, s7
	v_cndmask_b32_e64 v70, 0, v70, s7
	s_delay_alu instid0(VALU_DEP_2) | instskip(SKIP_1) | instid1(VALU_DEP_2)
	v_cvt_f32_f16_e32 v73, v69
	v_lshrrev_b32_e32 v69, 16, v69
	v_dual_mul_f32 v73, s11, v73 :: v_dual_add_nc_u32 v88, v71, v72
	v_cvt_f32_f16_e32 v71, v67
	v_lshrrev_b32_e32 v67, 16, v67
	v_cvt_f32_f16_e32 v72, v68
	v_add_nc_u32_e32 v87, s12, v82
	v_lshrrev_b32_e32 v68, 16, v68
	v_cvt_f32_f16_e32 v82, v70
	v_lshrrev_b32_e32 v70, 16, v70
	v_mul_f32_e32 v71, s11, v71
	v_cvt_f32_f16_e32 v67, v67
	v_mul_f32_e32 v72, s11, v72
	v_cvt_f32_f16_e32 v68, v68
	v_cvt_f32_f16_e32 v69, v69
	v_mul_f32_e32 v85, s11, v82
	v_cvt_f32_f16_e32 v70, v70
	s_wait_dscnt 0x1
	v_fma_mixlo_f16 v82, s10, v74, v71
	v_mul_f32_e32 v90, s11, v67
	v_fma_mixlo_f16 v83, s10, v76, v72
	v_mul_f32_e32 v76, s11, v68
	s_wait_dscnt 0x0
	v_fma_mixlo_f16 v84, s10, v78, v73
	v_mul_f32_e32 v78, s11, v69
	v_fma_mixlo_f16 v85, s10, v80, v85
	v_mul_f32_e32 v80, s11, v70
	v_wmma_f32_16x16x16_f16 v[67:74], v[60:63], v[0:3], 0
	v_fma_mixhi_f16 v83, s10, v77, v76
	v_fma_mixhi_f16 v82, s10, v75, v90
	v_lshlrev_b32_e32 v90, 1, v87
	s_delay_alu instid0(VALU_DEP_4)
	v_wmma_f32_16x16x16_f16 v[67:74], v[56:59], v[4:7], v[67:74]
	v_fma_mixhi_f16 v85, s10, v81, v80
	v_fma_mixhi_f16 v84, s10, v79, v78
	s_clause 0x1
	buffer_store_b64 v[82:83], v88, s[20:23], null offen
	buffer_store_b64 v[84:85], v89, s[20:23], null offen offset:8
	s_wait_dscnt 0x0
	s_barrier_signal -1
	s_barrier_wait -1
	ds_store_2addr_stride64_b32 v64, v67, v68 offset1:1
	ds_store_2addr_stride64_b32 v64, v69, v70 offset0:2 offset1:3
	ds_store_2addr_stride64_b32 v64, v71, v72 offset0:4 offset1:5
	ds_store_2addr_stride64_b32 v64, v73, v74 offset0:6 offset1:7
	s_wait_dscnt 0x0
	s_barrier_signal -1
	s_barrier_wait -1
	buffer_load_b128 v[67:70], v90, s[16:19], null offen
	v_or_b32_e32 v71, 64, v66
	ds_load_b128 v[74:77], v65
	ds_load_b128 v[78:81], v65 offset:16
	v_add_nc_u32_e32 v89, 64, v87
	v_cmp_gt_i32_e64 s7, s25, v71
	s_and_b32 s8, vcc_lo, s7
	s_wait_alu 0xfffe
	v_cndmask_b32_e64 v72, 0x80000000, 0, s8
	s_and_b32 s8, s2, s7
	s_wait_alu 0xfffe
	v_cndmask_b32_e64 v73, 0x80000008, 8, s8
	v_cmp_gt_i32_e64 s8, s24, v71
	s_and_b32 s9, s0, s8
	s_wait_loadcnt 0x0
	s_wait_alu 0xfffe
	v_cndmask_b32_e64 v67, 0, v67, s9
	v_cndmask_b32_e64 v68, 0, v68, s9
	s_and_b32 s9, s1, s8
	s_wait_alu 0xfffe
	v_cndmask_b32_e64 v70, 0, v70, s9
	v_cvt_f32_f16_e32 v71, v67
	v_lshrrev_b32_e32 v67, 16, v67
	v_cndmask_b32_e64 v69, 0, v69, s9
	s_and_b32 s9, s6, s7
	v_cvt_f32_f16_e32 v82, v70
	v_lshrrev_b32_e32 v70, 16, v70
	v_cvt_f32_f16_e32 v67, v67
	v_dual_mul_f32 v71, s11, v71 :: v_dual_add_nc_u32 v86, s13, v86
	s_delay_alu instid0(VALU_DEP_4) | instskip(NEXT) | instid1(VALU_DEP_4)
	v_mul_f32_e32 v85, s11, v82
	v_cvt_f32_f16_e32 v70, v70
	s_delay_alu instid0(VALU_DEP_3)
	v_dual_mul_f32 v93, s11, v67 :: v_dual_lshlrev_b32 v88, 1, v86
	s_wait_dscnt 0x1
	v_fma_mixlo_f16 v82, s10, v74, v71
	s_wait_dscnt 0x0
	v_fma_mixlo_f16 v85, s10, v80, v85
	v_mul_f32_e32 v80, s11, v70
	s_and_b32 s7, s3, s7
	v_add_nc_u32_e32 v91, v88, v72
	v_add_nc_u32_e32 v92, v73, v88
	v_cvt_f32_f16_e32 v72, v68
	v_lshrrev_b32_e32 v68, 16, v68
	v_cvt_f32_f16_e32 v73, v69
	v_lshrrev_b32_e32 v69, 16, v69
	v_fma_mixhi_f16 v82, s10, v75, v93
	v_mul_f32_e32 v72, s11, v72
	v_cvt_f32_f16_e32 v68, v68
	v_mul_f32_e32 v73, s11, v73
	v_cvt_f32_f16_e32 v69, v69
	v_fma_mixhi_f16 v85, s10, v81, v80
	v_fma_mixlo_f16 v83, s10, v76, v72
	v_mul_f32_e32 v76, s11, v68
	v_fma_mixlo_f16 v84, s10, v78, v73
	v_mul_f32_e32 v78, s11, v69
	v_wmma_f32_16x16x16_f16 v[67:74], v[60:63], v[20:23], 0
	s_delay_alu instid0(VALU_DEP_4) | instskip(SKIP_1) | instid1(VALU_DEP_4)
	v_fma_mixhi_f16 v83, s10, v77, v76
	v_lshlrev_b32_e32 v60, 1, v89
	v_fma_mixhi_f16 v84, s10, v79, v78
	s_delay_alu instid0(VALU_DEP_4)
	v_wmma_f32_16x16x16_f16 v[67:74], v[56:59], v[16:19], v[67:74]
	s_clause 0x1
	buffer_store_b64 v[82:83], v91, s[20:23], null offen
	buffer_store_b64 v[84:85], v92, s[20:23], null offen
	s_wait_dscnt 0x0
	s_barrier_signal -1
	s_barrier_wait -1
	ds_store_2addr_stride64_b32 v64, v67, v68 offset1:1
	ds_store_2addr_stride64_b32 v64, v69, v70 offset0:2 offset1:3
	ds_store_2addr_stride64_b32 v64, v71, v72 offset0:4 offset1:5
	;; [unrolled: 1-line block ×3, first 2 shown]
	s_wait_dscnt 0x0
	s_barrier_signal -1
	s_barrier_wait -1
	s_clause 0x1
	buffer_load_b64 v[57:58], v60, s[16:19], null offen
	buffer_load_b64 v[61:62], v90, s[16:19], null offen offset:136
	v_mov_b32_e32 v56, 0x88
	v_cndmask_b32_e64 v59, 0x80000000, 0, s9
	v_add_nc_u32_e32 v63, 64, v86
	s_delay_alu instid0(VALU_DEP_3) | instskip(SKIP_1) | instid1(VALU_DEP_2)
	v_cndmask_b32_e64 v60, 0x80000088, v56, s7
	s_and_b32 s7, s4, s8
	v_lshl_add_u32 v80, v63, 1, v59
	v_add_lshl_u32 v63, v63, s13, 1
	s_wait_loadcnt 0x1
	s_wait_alu 0xfffe
	v_cndmask_b32_e64 v68, 0, v57, s7
	v_cndmask_b32_e64 v67, 0, v58, s7
	s_and_b32 s7, s5, s8
	s_wait_loadcnt 0x0
	s_wait_alu 0xfffe
	v_cndmask_b32_e64 v62, 0, v62, s7
	v_cvt_f32_f16_e32 v69, v68
	v_cndmask_b32_e64 v61, 0, v61, s7
	v_lshrrev_b32_e32 v68, 16, v68
	v_cvt_f32_f16_e32 v70, v67
	v_lshrrev_b32_e32 v67, 16, v67
	v_mul_f32_e32 v69, s11, v69
	v_add_nc_u32_e32 v81, v60, v88
	ds_load_b128 v[57:60], v65
	ds_load_b128 v[74:77], v65 offset:16
	v_cvt_f32_f16_e32 v71, v61
	v_lshrrev_b32_e32 v61, 16, v61
	v_cvt_f32_f16_e32 v72, v62
	v_lshrrev_b32_e32 v62, 16, v62
	v_cvt_f32_f16_e32 v68, v68
	v_mul_f32_e32 v70, s11, v70
	v_cvt_f32_f16_e32 v67, v67
	v_mul_f32_e32 v71, s11, v71
	;; [unrolled: 2-line block ×3, first 2 shown]
	v_cvt_f32_f16_e32 v82, v62
	s_delay_alu instid0(VALU_DEP_3)
	v_mul_f32_e32 v83, s11, v73
	s_wait_dscnt 0x1
	v_fma_mixlo_f16 v61, s10, v57, v69
	v_mul_f32_e32 v57, s11, v68
	v_fma_mixlo_f16 v62, s10, v59, v70
	v_mul_f32_e32 v59, s11, v67
	s_wait_dscnt 0x0
	v_fma_mixlo_f16 v78, s10, v74, v71
	v_fma_mixlo_f16 v79, s10, v76, v72
	v_wmma_f32_16x16x16_f16 v[67:74], v[52:55], v[20:23], 0
	v_mul_f32_e32 v76, s11, v82
	v_fma_mixhi_f16 v62, s10, v60, v59
	v_fma_mixhi_f16 v61, s10, v58, v57
	v_add_lshl_u32 v57, v89, s12, 1
	v_wmma_f32_16x16x16_f16 v[67:74], v[48:51], v[16:19], v[67:74]
	v_fma_mixhi_f16 v79, s10, v77, v76
	v_fma_mixhi_f16 v78, s10, v75, v83
	s_clause 0x1
	buffer_store_b64 v[61:62], v80, s[20:23], null offen
	buffer_store_b64 v[78:79], v81, s[20:23], null offen
	s_wait_dscnt 0x0
	s_barrier_signal -1
	s_barrier_wait -1
	ds_store_2addr_stride64_b32 v64, v67, v68 offset1:1
	ds_store_2addr_stride64_b32 v64, v69, v70 offset0:2 offset1:3
	ds_store_2addr_stride64_b32 v64, v71, v72 offset0:4 offset1:5
	;; [unrolled: 1-line block ×3, first 2 shown]
	s_wait_dscnt 0x0
	s_barrier_signal -1
	s_barrier_wait -1
	buffer_load_b128 v[57:60], v57, s[16:19], null offen
	v_or_b32_e32 v61, 0x60, v66
	ds_load_b128 v[74:77], v65
	ds_load_b128 v[78:81], v65 offset:16
	v_cmp_gt_i32_e64 s7, s25, v61
	s_and_b32 s8, s6, s7
	s_wait_alu 0xfffe
	v_cndmask_b32_e64 v62, 0x80000000, 0, s8
	s_and_b32 s8, s3, s7
	s_wait_alu 0xfffe
	v_cndmask_b32_e64 v67, 0x80000008, 8, s8
	v_cmp_gt_i32_e64 s8, s24, v61
	v_add_nc_u32_e32 v62, v63, v62
	v_add_nc_u32_e32 v61, s12, v87
	s_delay_alu instid0(VALU_DEP_4)
	v_add_nc_u32_e32 v63, v67, v63
	s_and_b32 s9, s4, s8
	s_wait_loadcnt 0x0
	s_wait_alu 0xfffe
	v_cndmask_b32_e64 v58, 0, v58, s9
	v_cndmask_b32_e64 v57, 0, v57, s9
	s_and_b32 s9, s5, s8
	s_wait_alu 0xfffe
	v_cndmask_b32_e64 v60, 0, v60, s9
	v_cndmask_b32_e64 v59, 0, v59, s9
	v_cvt_f32_f16_e32 v67, v57
	v_lshrrev_b32_e32 v57, 16, v57
	v_cvt_f32_f16_e32 v68, v58
	v_lshrrev_b32_e32 v58, 16, v58
	;; [unrolled: 2-line block ×4, first 2 shown]
	v_mul_f32_e32 v67, s11, v67
	v_cvt_f32_f16_e32 v71, v57
	v_mul_f32_e32 v68, s11, v68
	v_cvt_f32_f16_e32 v72, v58
	;; [unrolled: 2-line block ×4, first 2 shown]
	s_and_b32 s9, vcc_lo, s7
	s_and_b32 s7, s2, s7
	s_wait_dscnt 0x1
	v_fma_mixlo_f16 v57, s10, v74, v67
	v_mul_f32_e32 v83, s11, v71
	v_fma_mixlo_f16 v58, s10, v76, v68
	v_mul_f32_e32 v76, s11, v72
	s_wait_dscnt 0x0
	v_fma_mixlo_f16 v59, s10, v78, v69
	v_mul_f32_e32 v78, s11, v73
	v_fma_mixlo_f16 v60, s10, v80, v70
	v_wmma_f32_16x16x16_f16 v[67:74], v[52:55], v[0:3], 0
	s_wait_alu 0xfffe
	v_cndmask_b32_e64 v54, 0x80000008, 8, s7
	v_mul_f32_e32 v80, s11, v82
	v_fma_mixhi_f16 v58, s10, v77, v76
	v_fma_mixhi_f16 v57, s10, v75, v83
	v_lshlrev_b32_e32 v52, 1, v61
	v_wmma_f32_16x16x16_f16 v[67:74], v[48:51], v[4:7], v[67:74]
	v_fma_mixhi_f16 v60, s10, v81, v80
	v_fma_mixhi_f16 v59, s10, v79, v78
	s_clause 0x1
	buffer_store_b64 v[57:58], v62, s[20:23], null offen
	buffer_store_b64 v[59:60], v63, s[20:23], null offen
	s_wait_dscnt 0x0
	s_barrier_signal -1
	s_barrier_wait -1
	ds_store_2addr_stride64_b32 v64, v67, v68 offset1:1
	ds_store_2addr_stride64_b32 v64, v69, v70 offset0:2 offset1:3
	ds_store_2addr_stride64_b32 v64, v71, v72 offset0:4 offset1:5
	;; [unrolled: 1-line block ×3, first 2 shown]
	s_wait_dscnt 0x0
	s_barrier_signal -1
	s_barrier_wait -1
	buffer_load_b128 v[48:51], v52, s[16:19], null offen
	v_add_nc_u32_e32 v63, s13, v86
	ds_load_b128 v[57:60], v65
	ds_load_b128 v[67:70], v65 offset:16
	s_and_b32 s7, s0, s8
	v_cndmask_b32_e64 v52, 0x80000000, 0, s9
	v_add_nc_u32_e32 v73, s12, v61
	v_lshlrev_b32_e32 v53, 1, v63
	s_delay_alu instid0(VALU_DEP_2) | instskip(NEXT) | instid1(VALU_DEP_2)
	v_lshlrev_b32_e32 v76, 1, v73
	v_add_nc_u32_e32 v74, v53, v52
	v_add_nc_u32_e32 v75, v54, v53
	s_wait_loadcnt 0x0
	s_wait_alu 0xfffe
	v_cndmask_b32_e64 v49, 0, v49, s7
	v_cndmask_b32_e64 v48, 0, v48, s7
	s_and_b32 s7, s1, s8
	s_wait_alu 0xfffe
	v_cndmask_b32_e64 v51, 0, v51, s7
	v_cndmask_b32_e64 v50, 0, v50, s7
	v_cvt_f32_f16_e32 v52, v48
	v_lshrrev_b32_e32 v48, 16, v48
	v_cvt_f32_f16_e32 v53, v49
	v_lshrrev_b32_e32 v49, 16, v49
	;; [unrolled: 2-line block ×4, first 2 shown]
	v_cvt_f32_f16_e32 v48, v48
	v_mul_f32_e32 v53, s11, v53
	v_cvt_f32_f16_e32 v49, v49
	v_mul_f32_e32 v52, s11, v52
	;; [unrolled: 2-line block ×4, first 2 shown]
	s_wait_dscnt 0x1
	v_fma_mixlo_f16 v62, s10, v59, v53
	v_mul_f32_e32 v59, s11, v49
	v_fma_mixlo_f16 v61, s10, v57, v52
	v_mul_f32_e32 v57, s11, v48
	s_wait_dscnt 0x0
	v_fma_mixlo_f16 v72, s10, v69, v55
	v_mul_f32_e32 v69, s11, v51
	v_fma_mixlo_f16 v71, s10, v67, v54
	v_mul_f32_e32 v67, s11, v50
	v_wmma_f32_16x16x16_f16 v[48:55], v[44:47], v[0:3], 0
	v_fma_mixhi_f16 v62, s10, v60, v59
	v_fma_mixhi_f16 v61, s10, v58, v57
	v_fma_mixhi_f16 v72, s10, v70, v69
	s_delay_alu instid0(VALU_DEP_4)
	v_wmma_f32_16x16x16_f16 v[48:55], v[40:43], v[4:7], v[48:55]
	v_fma_mixhi_f16 v71, s10, v68, v67
	s_clause 0x1
	buffer_store_b64 v[61:62], v74, s[20:23], null offen
	buffer_store_b64 v[71:72], v75, s[20:23], null offen
	s_wait_dscnt 0x0
	s_barrier_signal -1
	s_barrier_wait -1
	ds_store_2addr_stride64_b32 v64, v48, v49 offset1:1
	ds_store_2addr_stride64_b32 v64, v50, v51 offset0:2 offset1:3
	ds_store_2addr_stride64_b32 v64, v52, v53 offset0:4 offset1:5
	;; [unrolled: 1-line block ×3, first 2 shown]
	s_wait_dscnt 0x0
	s_barrier_signal -1
	s_barrier_wait -1
	buffer_load_b128 v[48:51], v76, s[16:19], null offen
	v_or_b32_e32 v52, 0x80, v66
	ds_load_b128 v[57:60], v65
	ds_load_b128 v[67:70], v65 offset:16
	v_cmp_gt_i32_e64 s7, s25, v52
	s_and_b32 s8, vcc_lo, s7
	s_wait_alu 0xfffe
	v_cndmask_b32_e64 v53, 0x80000000, 0, s8
	s_and_b32 s8, s2, s7
	s_wait_alu 0xfffe
	v_cndmask_b32_e64 v54, 0x80000008, 8, s8
	v_cmp_gt_i32_e64 s8, s24, v52
	s_and_b32 s9, s0, s8
	s_wait_loadcnt 0x0
	s_wait_alu 0xfffe
	v_cndmask_b32_e64 v48, 0, v48, s9
	v_cndmask_b32_e64 v49, 0, v49, s9
	s_and_b32 s9, s1, s8
	s_wait_alu 0xfffe
	v_cndmask_b32_e64 v51, 0, v51, s9
	v_cvt_f32_f16_e32 v52, v48
	v_add_nc_u32_e32 v63, s13, v63
	v_cndmask_b32_e64 v50, 0, v50, s9
	v_lshrrev_b32_e32 v48, 16, v48
	v_cvt_f32_f16_e32 v55, v51
	v_mul_f32_e32 v52, s11, v52
	v_lshlrev_b32_e32 v74, 1, v63
	v_lshrrev_b32_e32 v51, 16, v51
	v_cvt_f32_f16_e32 v48, v48
	v_mul_f32_e32 v55, s11, v55
	s_wait_dscnt 0x1
	v_fma_mixlo_f16 v61, s10, v57, v52
	v_add_nc_u32_e32 v77, v74, v53
	v_cvt_f32_f16_e32 v53, v49
	v_lshrrev_b32_e32 v49, 16, v49
	v_cvt_f32_f16_e32 v51, v51
	s_wait_dscnt 0x0
	v_fma_mixlo_f16 v72, s10, v69, v55
	s_and_b32 s9, s6, s7
	v_dual_mul_f32 v53, s11, v53 :: v_dual_add_nc_u32 v78, v54, v74
	v_cvt_f32_f16_e32 v54, v50
	v_lshrrev_b32_e32 v50, 16, v50
	v_add_nc_u32_e32 v75, 64, v73
	v_cvt_f32_f16_e32 v49, v49
	v_fma_mixlo_f16 v62, s10, v59, v53
	v_mul_f32_e32 v54, s11, v54
	v_cvt_f32_f16_e32 v50, v50
	v_mul_f32_e32 v57, s11, v48
	v_mul_f32_e32 v59, s11, v49
	v_mul_f32_e32 v69, s11, v51
	v_fma_mixlo_f16 v71, s10, v67, v54
	v_mul_f32_e32 v67, s11, v50
	v_wmma_f32_16x16x16_f16 v[48:55], v[44:47], v[20:23], 0
	v_fma_mixhi_f16 v62, s10, v60, v59
	v_lshlrev_b32_e32 v44, 1, v75
	v_fma_mixhi_f16 v61, s10, v58, v57
	s_delay_alu instid0(VALU_DEP_4)
	v_wmma_f32_16x16x16_f16 v[48:55], v[40:43], v[16:19], v[48:55]
	v_fma_mixhi_f16 v72, s10, v70, v69
	v_fma_mixhi_f16 v71, s10, v68, v67
	s_clause 0x1
	buffer_store_b64 v[61:62], v77, s[20:23], null offen
	buffer_store_b64 v[71:72], v78, s[20:23], null offen
	s_wait_dscnt 0x0
	s_barrier_signal -1
	s_barrier_wait -1
	ds_store_2addr_stride64_b32 v64, v48, v49 offset1:1
	ds_store_2addr_stride64_b32 v64, v50, v51 offset0:2 offset1:3
	ds_store_2addr_stride64_b32 v64, v52, v53 offset0:4 offset1:5
	;; [unrolled: 1-line block ×3, first 2 shown]
	s_wait_dscnt 0x0
	s_barrier_signal -1
	s_barrier_wait -1
	s_clause 0x1
	buffer_load_b64 v[40:41], v44, s[16:19], null offen
	buffer_load_b64 v[42:43], v76, s[16:19], null offen offset:136
	s_and_b32 s7, s3, s7
	ds_load_b128 v[47:50], v65
	ds_load_b128 v[51:54], v65 offset:16
	s_wait_alu 0xfffe
	v_cndmask_b32_e64 v45, 0x80000088, v56, s7
	s_and_b32 s7, s4, s8
	v_cndmask_b32_e64 v44, 0x80000000, 0, s9
	v_add_nc_u32_e32 v55, 64, v63
	s_delay_alu instid0(VALU_DEP_3) | instskip(NEXT) | instid1(VALU_DEP_2)
	v_add_nc_u32_e32 v62, v45, v74
	v_lshl_add_u32 v61, v55, 1, v44
	s_wait_loadcnt 0x1
	s_wait_alu 0xfffe
	v_cndmask_b32_e64 v41, 0, v41, s7
	v_cndmask_b32_e64 v40, 0, v40, s7
	s_and_b32 s7, s5, s8
	s_wait_loadcnt 0x0
	s_wait_alu 0xfffe
	v_cndmask_b32_e64 v43, 0, v43, s7
	v_cndmask_b32_e64 v42, 0, v42, s7
	v_cvt_f32_f16_e32 v44, v40
	v_lshrrev_b32_e32 v40, 16, v40
	v_cvt_f32_f16_e32 v45, v41
	v_lshrrev_b32_e32 v41, 16, v41
	;; [unrolled: 2-line block ×4, first 2 shown]
	v_mul_f32_e32 v44, s11, v44
	v_cvt_f32_f16_e32 v40, v40
	v_mul_f32_e32 v45, s11, v45
	v_cvt_f32_f16_e32 v41, v41
	;; [unrolled: 2-line block ×4, first 2 shown]
	s_wait_dscnt 0x1
	v_fma_mixlo_f16 v57, s10, v47, v44
	v_mul_f32_e32 v67, s11, v40
	v_fma_mixlo_f16 v58, s10, v49, v45
	v_mul_f32_e32 v49, s11, v41
	s_wait_dscnt 0x0
	v_fma_mixlo_f16 v59, s10, v51, v46
	v_mul_f32_e32 v51, s11, v42
	v_fma_mixlo_f16 v60, s10, v53, v60
	v_mul_f32_e32 v53, s11, v43
	v_wmma_f32_16x16x16_f16 v[40:47], v[36:39], v[20:23], 0
	v_fma_mixhi_f16 v58, s10, v50, v49
	v_fma_mixhi_f16 v57, s10, v48, v67
	v_add_lshl_u32 v48, v75, s12, 1
	s_delay_alu instid0(VALU_DEP_4)
	v_wmma_f32_16x16x16_f16 v[40:47], v[32:35], v[16:19], v[40:47]
	v_fma_mixhi_f16 v60, s10, v54, v53
	v_fma_mixhi_f16 v59, s10, v52, v51
	s_clause 0x1
	buffer_store_b64 v[57:58], v61, s[20:23], null offen
	buffer_store_b64 v[59:60], v62, s[20:23], null offen
	s_wait_dscnt 0x0
	s_barrier_signal -1
	s_barrier_wait -1
	ds_store_2addr_stride64_b32 v64, v40, v41 offset1:1
	ds_store_2addr_stride64_b32 v64, v42, v43 offset0:2 offset1:3
	ds_store_2addr_stride64_b32 v64, v44, v45 offset0:4 offset1:5
	;; [unrolled: 1-line block ×3, first 2 shown]
	s_wait_dscnt 0x0
	s_barrier_signal -1
	s_barrier_wait -1
	buffer_load_b128 v[40:43], v48, s[16:19], null offen
	v_or_b32_e32 v44, 0xa0, v66
	s_delay_alu instid0(VALU_DEP_1)
	v_cmp_gt_i32_e64 s7, s25, v44
	s_and_b32 s8, s6, s7
	s_wait_alu 0xfffe
	v_cndmask_b32_e64 v45, 0x80000000, 0, s8
	s_and_b32 s8, s3, s7
	s_wait_alu 0xfffe
	v_cndmask_b32_e64 v47, 0x80000008, 8, s8
	v_cmp_gt_i32_e64 s8, s24, v44
	s_and_b32 s9, s4, s8
	s_wait_loadcnt 0x0
	s_wait_alu 0xfffe
	v_cndmask_b32_e64 v40, 0, v40, s9
	v_cndmask_b32_e64 v41, 0, v41, s9
	s_and_b32 s9, s5, s8
	s_wait_alu 0xfffe
	v_cndmask_b32_e64 v43, 0, v43, s9
	v_cvt_f32_f16_e32 v44, v40
	v_cndmask_b32_e64 v42, 0, v42, s9
	v_lshrrev_b32_e32 v40, 16, v40
	s_and_b32 s9, vcc_lo, s7
	v_cvt_f32_f16_e32 v57, v43
	v_mul_f32_e32 v44, s11, v44
	v_add_lshl_u32 v46, v55, s13, 1
	v_lshrrev_b32_e32 v43, 16, v43
	v_add_nc_u32_e32 v55, s12, v73
	v_cvt_f32_f16_e32 v40, v40
	v_mul_f32_e32 v60, s11, v57
	v_add_nc_u32_e32 v62, v47, v46
	ds_load_b128 v[47:50], v65
	ds_load_b128 v[51:54], v65 offset:16
	v_add_nc_u32_e32 v61, v46, v45
	v_cvt_f32_f16_e32 v45, v41
	v_lshrrev_b32_e32 v41, 16, v41
	v_cvt_f32_f16_e32 v46, v42
	v_lshrrev_b32_e32 v42, 16, v42
	v_cvt_f32_f16_e32 v43, v43
	v_mul_f32_e32 v45, s11, v45
	v_cvt_f32_f16_e32 v41, v41
	v_mul_f32_e32 v46, s11, v46
	;; [unrolled: 2-line block ×3, first 2 shown]
	s_and_b32 s7, s2, s7
	s_wait_dscnt 0x1
	v_fma_mixlo_f16 v57, s10, v47, v44
	v_fma_mixlo_f16 v58, s10, v49, v45
	v_mul_f32_e32 v49, s11, v41
	s_wait_dscnt 0x0
	v_fma_mixlo_f16 v59, s10, v51, v46
	v_mul_f32_e32 v51, s11, v42
	v_fma_mixlo_f16 v60, s10, v53, v60
	v_mul_f32_e32 v53, s11, v43
	v_wmma_f32_16x16x16_f16 v[40:47], v[36:39], v[0:3], 0
	v_fma_mixhi_f16 v58, s10, v50, v49
	v_fma_mixhi_f16 v57, s10, v48, v67
	v_lshlrev_b32_e32 v36, 1, v55
	s_delay_alu instid0(VALU_DEP_4)
	v_wmma_f32_16x16x16_f16 v[40:47], v[32:35], v[4:7], v[40:47]
	v_fma_mixhi_f16 v60, s10, v54, v53
	v_fma_mixhi_f16 v59, s10, v52, v51
	s_clause 0x1
	buffer_store_b64 v[57:58], v61, s[20:23], null offen
	buffer_store_b64 v[59:60], v62, s[20:23], null offen
	s_wait_dscnt 0x0
	s_barrier_signal -1
	s_barrier_wait -1
	ds_store_2addr_stride64_b32 v64, v40, v41 offset1:1
	ds_store_2addr_stride64_b32 v64, v42, v43 offset0:2 offset1:3
	ds_store_2addr_stride64_b32 v64, v44, v45 offset0:4 offset1:5
	;; [unrolled: 1-line block ×3, first 2 shown]
	s_wait_dscnt 0x0
	s_barrier_signal -1
	s_barrier_wait -1
	buffer_load_b128 v[32:35], v36, s[16:19], null offen
	v_add_nc_u32_e32 v51, s13, v63
	ds_load_b128 v[39:42], v65
	ds_load_b128 v[43:46], v65 offset:16
	v_cndmask_b32_e64 v38, 0x80000008, 8, s7
	s_and_b32 s7, s0, s8
	v_cndmask_b32_e64 v36, 0x80000000, 0, s9
	v_lshlrev_b32_e32 v37, 1, v51
	v_add_nc_u32_e32 v51, s13, v51
	s_delay_alu instid0(VALU_DEP_2)
	v_add_nc_u32_e32 v53, v37, v36
	v_add_nc_u32_e32 v54, v38, v37
	s_wait_loadcnt 0x0
	s_wait_alu 0xfffe
	v_cndmask_b32_e64 v33, 0, v33, s7
	v_cndmask_b32_e64 v32, 0, v32, s7
	s_and_b32 s7, s1, s8
	s_wait_alu 0xfffe
	v_cndmask_b32_e64 v35, 0, v35, s7
	v_cndmask_b32_e64 v34, 0, v34, s7
	v_cvt_f32_f16_e32 v36, v32
	v_lshrrev_b32_e32 v32, 16, v32
	v_cvt_f32_f16_e32 v37, v33
	v_lshrrev_b32_e32 v33, 16, v33
	;; [unrolled: 2-line block ×4, first 2 shown]
	v_mul_f32_e32 v36, s11, v36
	v_cvt_f32_f16_e32 v32, v32
	v_mul_f32_e32 v37, s11, v37
	v_cvt_f32_f16_e32 v33, v33
	;; [unrolled: 2-line block ×4, first 2 shown]
	v_add_nc_u32_e32 v52, s12, v55
	s_wait_dscnt 0x1
	v_fma_mixlo_f16 v47, s10, v39, v36
	v_mul_f32_e32 v55, s11, v32
	v_fma_mixlo_f16 v48, s10, v41, v37
	v_mul_f32_e32 v41, s11, v33
	s_wait_dscnt 0x0
	v_fma_mixlo_f16 v49, s10, v43, v38
	v_mul_f32_e32 v43, s11, v34
	v_fma_mixlo_f16 v50, s10, v45, v50
	v_mul_f32_e32 v45, s11, v35
	v_wmma_f32_16x16x16_f16 v[32:39], v[28:31], v[0:3], 0
	v_fma_mixhi_f16 v48, s10, v42, v41
	v_fma_mixhi_f16 v47, s10, v40, v55
	v_lshlrev_b32_e32 v55, 1, v52
	s_delay_alu instid0(VALU_DEP_4)
	v_wmma_f32_16x16x16_f16 v[32:39], v[24:27], v[4:7], v[32:39]
	v_fma_mixhi_f16 v50, s10, v46, v45
	v_fma_mixhi_f16 v49, s10, v44, v43
	s_clause 0x1
	buffer_store_b64 v[47:48], v53, s[20:23], null offen
	buffer_store_b64 v[49:50], v54, s[20:23], null offen
	s_wait_dscnt 0x0
	s_barrier_signal -1
	s_barrier_wait -1
	ds_store_2addr_stride64_b32 v64, v32, v33 offset1:1
	ds_store_2addr_stride64_b32 v64, v34, v35 offset0:2 offset1:3
	ds_store_2addr_stride64_b32 v64, v36, v37 offset0:4 offset1:5
	;; [unrolled: 1-line block ×3, first 2 shown]
	s_wait_dscnt 0x0
	s_barrier_signal -1
	s_barrier_wait -1
	buffer_load_b128 v[32:35], v55, s[16:19], null offen
	v_or_b32_e32 v36, 0xc0, v66
	ds_load_b128 v[39:42], v65
	ds_load_b128 v[43:46], v65 offset:16
	v_lshlrev_b32_e32 v53, 1, v51
	v_add_nc_u32_e32 v54, 64, v52
	v_cmp_gt_i32_e64 s7, s25, v36
	s_and_b32 s8, vcc_lo, s7
	s_wait_alu 0xfffe
	v_cndmask_b32_e64 v37, 0x80000000, 0, s8
	s_and_b32 s8, s2, s7
	s_wait_alu 0xfffe
	v_cndmask_b32_e64 v38, 0x80000008, 8, s8
	v_cmp_gt_i32_e64 s8, s24, v36
	v_add_nc_u32_e32 v57, v53, v37
	s_delay_alu instid0(VALU_DEP_3)
	v_add_nc_u32_e32 v58, v38, v53
	s_and_b32 s9, s0, s8
	s_wait_loadcnt 0x0
	s_wait_alu 0xfffe
	v_cndmask_b32_e64 v33, 0, v33, s9
	v_cndmask_b32_e64 v32, 0, v32, s9
	s_and_b32 s9, s1, s8
	s_wait_alu 0xfffe
	v_cndmask_b32_e64 v35, 0, v35, s9
	v_cndmask_b32_e64 v34, 0, v34, s9
	v_cvt_f32_f16_e32 v36, v32
	v_lshrrev_b32_e32 v32, 16, v32
	v_cvt_f32_f16_e32 v37, v33
	v_lshrrev_b32_e32 v33, 16, v33
	v_cvt_f32_f16_e32 v38, v34
	v_lshrrev_b32_e32 v34, 16, v34
	v_cvt_f32_f16_e32 v47, v35
	v_lshrrev_b32_e32 v35, 16, v35
	v_mul_f32_e32 v36, s11, v36
	v_cvt_f32_f16_e32 v32, v32
	v_mul_f32_e32 v37, s11, v37
	v_cvt_f32_f16_e32 v33, v33
	;; [unrolled: 2-line block ×4, first 2 shown]
	s_wait_dscnt 0x1
	v_fma_mixlo_f16 v47, s10, v39, v36
	v_mul_f32_e32 v59, s11, v32
	v_fma_mixlo_f16 v48, s10, v41, v37
	v_mul_f32_e32 v41, s11, v33
	s_wait_dscnt 0x0
	v_fma_mixlo_f16 v49, s10, v43, v38
	v_mul_f32_e32 v43, s11, v34
	v_fma_mixlo_f16 v50, s10, v45, v50
	v_mul_f32_e32 v45, s11, v35
	v_wmma_f32_16x16x16_f16 v[32:39], v[28:31], v[20:23], 0
	v_fma_mixhi_f16 v48, s10, v42, v41
	v_fma_mixhi_f16 v47, s10, v40, v59
	v_lshlrev_b32_e32 v28, 1, v54
	s_delay_alu instid0(VALU_DEP_4)
	v_wmma_f32_16x16x16_f16 v[32:39], v[24:27], v[16:19], v[32:39]
	v_fma_mixhi_f16 v50, s10, v46, v45
	v_fma_mixhi_f16 v49, s10, v44, v43
	s_clause 0x1
	buffer_store_b64 v[47:48], v57, s[20:23], null offen
	buffer_store_b64 v[49:50], v58, s[20:23], null offen
	s_wait_dscnt 0x0
	s_barrier_signal -1
	s_barrier_wait -1
	ds_store_2addr_stride64_b32 v64, v32, v33 offset1:1
	ds_store_2addr_stride64_b32 v64, v34, v35 offset0:2 offset1:3
	ds_store_2addr_stride64_b32 v64, v36, v37 offset0:4 offset1:5
	;; [unrolled: 1-line block ×3, first 2 shown]
	s_wait_dscnt 0x0
	s_barrier_signal -1
	s_barrier_wait -1
	s_clause 0x1
	buffer_load_b64 v[24:25], v28, s[16:19], null offen
	buffer_load_b64 v[26:27], v55, s[16:19], null offen offset:136
	s_and_b32 s9, s6, s7
	s_and_b32 s7, s3, s7
	ds_load_b128 v[31:34], v65
	ds_load_b128 v[35:38], v65 offset:16
	s_wait_alu 0xfffe
	v_cndmask_b32_e64 v29, 0x80000088, v56, s7
	s_and_b32 s7, s4, s8
	v_cndmask_b32_e64 v28, 0x80000000, 0, s9
	v_add_nc_u32_e32 v43, 64, v51
	s_delay_alu instid0(VALU_DEP_3) | instskip(NEXT) | instid1(VALU_DEP_2)
	v_add_nc_u32_e32 v45, v29, v53
	v_lshl_add_u32 v44, v43, 1, v28
	s_wait_loadcnt 0x1
	s_wait_alu 0xfffe
	v_cndmask_b32_e64 v25, 0, v25, s7
	v_cndmask_b32_e64 v24, 0, v24, s7
	s_and_b32 s7, s5, s8
	s_wait_loadcnt 0x0
	s_wait_alu 0xfffe
	v_cndmask_b32_e64 v27, 0, v27, s7
	v_cndmask_b32_e64 v26, 0, v26, s7
	v_cvt_f32_f16_e32 v28, v24
	v_lshrrev_b32_e32 v24, 16, v24
	v_cvt_f32_f16_e32 v29, v25
	v_lshrrev_b32_e32 v25, 16, v25
	;; [unrolled: 2-line block ×4, first 2 shown]
	v_mul_f32_e32 v28, s11, v28
	v_cvt_f32_f16_e32 v24, v24
	v_mul_f32_e32 v29, s11, v29
	v_cvt_f32_f16_e32 v25, v25
	;; [unrolled: 2-line block ×4, first 2 shown]
	s_wait_dscnt 0x1
	v_fma_mixlo_f16 v39, s10, v31, v28
	v_mul_f32_e32 v46, s11, v24
	v_fma_mixlo_f16 v40, s10, v33, v29
	v_mul_f32_e32 v33, s11, v25
	s_wait_dscnt 0x0
	v_fma_mixlo_f16 v41, s10, v35, v30
	v_mul_f32_e32 v35, s11, v26
	v_fma_mixlo_f16 v42, s10, v37, v42
	v_mul_f32_e32 v37, s11, v27
	v_wmma_f32_16x16x16_f16 v[24:31], v[12:15], v[20:23], 0
	v_fma_mixhi_f16 v40, s10, v34, v33
	v_fma_mixhi_f16 v39, s10, v32, v46
	v_add_lshl_u32 v20, v54, s12, 1
	s_delay_alu instid0(VALU_DEP_4)
	v_wmma_f32_16x16x16_f16 v[24:31], v[8:11], v[16:19], v[24:31]
	v_fma_mixhi_f16 v42, s10, v38, v37
	v_fma_mixhi_f16 v41, s10, v36, v35
	s_clause 0x1
	buffer_store_b64 v[39:40], v44, s[20:23], null offen
	buffer_store_b64 v[41:42], v45, s[20:23], null offen
	s_wait_dscnt 0x0
	s_barrier_signal -1
	s_barrier_wait -1
	ds_store_2addr_stride64_b32 v64, v24, v25 offset1:1
	ds_store_2addr_stride64_b32 v64, v26, v27 offset0:2 offset1:3
	ds_store_2addr_stride64_b32 v64, v28, v29 offset0:4 offset1:5
	;; [unrolled: 1-line block ×3, first 2 shown]
	s_wait_dscnt 0x0
	s_barrier_signal -1
	s_barrier_wait -1
	buffer_load_b128 v[16:19], v20, s[16:19], null offen
	v_or_b32_e32 v20, 0xe0, v66
	v_add_lshl_u32 v22, v43, s13, 1
	s_delay_alu instid0(VALU_DEP_2)
	v_cmp_gt_i32_e64 s7, s25, v20
	s_and_b32 s3, s3, s7
	s_and_b32 s6, s6, s7
	s_wait_alu 0xfffe
	v_cndmask_b32_e64 v23, 0x80000008, 8, s3
	v_cmp_gt_i32_e64 s3, s24, v20
	v_cndmask_b32_e64 v21, 0x80000000, 0, s6
	s_and_b32 s2, s2, s7
	v_add_nc_u32_e32 v36, v23, v22
	ds_load_b128 v[23:26], v65
	ds_load_b128 v[27:30], v65 offset:16
	s_and_b32 s4, s4, s3
	v_add_nc_u32_e32 v35, v22, v21
	s_wait_loadcnt 0x0
	s_wait_alu 0xfffe
	v_cndmask_b32_e64 v17, 0, v17, s4
	v_cndmask_b32_e64 v16, 0, v16, s4
	s_and_b32 s4, s5, s3
	s_wait_alu 0xfffe
	v_cndmask_b32_e64 v19, 0, v19, s4
	v_cndmask_b32_e64 v18, 0, v18, s4
	v_cvt_f32_f16_e32 v20, v16
	v_lshrrev_b32_e32 v16, 16, v16
	v_cvt_f32_f16_e32 v21, v17
	v_lshrrev_b32_e32 v17, 16, v17
	;; [unrolled: 2-line block ×4, first 2 shown]
	v_mul_f32_e32 v20, s11, v20
	v_cvt_f32_f16_e32 v16, v16
	v_mul_f32_e32 v21, s11, v21
	v_cvt_f32_f16_e32 v17, v17
	;; [unrolled: 2-line block ×4, first 2 shown]
	s_wait_dscnt 0x1
	v_fma_mixlo_f16 v31, s10, v23, v20
	v_mul_f32_e32 v37, s11, v16
	v_fma_mixlo_f16 v32, s10, v25, v21
	v_mul_f32_e32 v25, s11, v17
	s_wait_dscnt 0x0
	v_fma_mixlo_f16 v33, s10, v27, v22
	v_mul_f32_e32 v27, s11, v18
	v_fma_mixlo_f16 v34, s10, v29, v34
	v_mul_f32_e32 v29, s11, v19
	v_wmma_f32_16x16x16_f16 v[16:23], v[12:15], v[0:3], 0
	v_fma_mixhi_f16 v32, s10, v26, v25
	v_fma_mixhi_f16 v31, s10, v24, v37
	v_add_lshl_u32 v0, v52, s12, 1
	s_delay_alu instid0(VALU_DEP_4)
	v_wmma_f32_16x16x16_f16 v[16:23], v[8:11], v[4:7], v[16:23]
	v_fma_mixhi_f16 v34, s10, v30, v29
	v_fma_mixhi_f16 v33, s10, v28, v27
	s_clause 0x1
	buffer_store_b64 v[31:32], v35, s[20:23], null offen
	buffer_store_b64 v[33:34], v36, s[20:23], null offen
	s_wait_dscnt 0x0
	s_barrier_signal -1
	s_barrier_wait -1
	ds_store_2addr_stride64_b32 v64, v16, v17 offset1:1
	ds_store_2addr_stride64_b32 v64, v18, v19 offset0:2 offset1:3
	ds_store_2addr_stride64_b32 v64, v20, v21 offset0:4 offset1:5
	;; [unrolled: 1-line block ×3, first 2 shown]
	s_wait_dscnt 0x0
	s_barrier_signal -1
	s_barrier_wait -1
	buffer_load_b128 v[0:3], v0, s[16:19], null offen
	s_and_b32 s4, vcc_lo, s7
	v_add_lshl_u32 v12, v51, s13, 1
	s_wait_alu 0xfffe
	v_cndmask_b32_e64 v4, 0x80000000, 0, s4
	s_and_b32 vcc_lo, s0, s3
	v_cndmask_b32_e64 v13, 0x80000008, 8, s2
	s_delay_alu instid0(VALU_DEP_2)
	v_add_nc_u32_e32 v14, v12, v4
	ds_load_b128 v[4:7], v65
	ds_load_b128 v[8:11], v65 offset:16
	s_wait_loadcnt 0x0
	s_wait_alu 0xfffe
	v_dual_cndmask_b32 v1, 0, v1 :: v_dual_add_nc_u32 v12, v13, v12
	v_cndmask_b32_e32 v0, 0, v0, vcc_lo
	s_and_b32 vcc_lo, s1, s3
	s_wait_alu 0xfffe
	v_dual_cndmask_b32 v3, 0, v3 :: v_dual_cndmask_b32 v2, 0, v2
	s_delay_alu instid0(VALU_DEP_2)
	v_cvt_f32_f16_e32 v15, v0
	v_lshrrev_b32_e32 v0, 16, v0
	v_cvt_f32_f16_e32 v16, v1
	v_lshrrev_b32_e32 v1, 16, v1
	;; [unrolled: 2-line block ×4, first 2 shown]
	v_mul_f32_e32 v15, s11, v15
	v_cvt_f32_f16_e32 v19, v0
	v_mul_f32_e32 v16, s11, v16
	v_cvt_f32_f16_e32 v20, v1
	;; [unrolled: 2-line block ×4, first 2 shown]
	s_wait_dscnt 0x1
	v_fma_mixlo_f16 v0, s10, v4, v15
	v_mul_f32_e32 v4, s11, v19
	v_fma_mixlo_f16 v1, s10, v6, v16
	v_mul_f32_e32 v6, s11, v20
	s_wait_dscnt 0x0
	v_fma_mixlo_f16 v2, s10, v8, v17
	v_fma_mixlo_f16 v3, s10, v10, v18
	v_mul_f32_e32 v8, s11, v22
	v_mul_f32_e32 v10, s11, v21
	v_fma_mixhi_f16 v1, s10, v7, v6
	v_fma_mixhi_f16 v0, s10, v5, v4
	s_delay_alu instid0(VALU_DEP_4) | instskip(NEXT) | instid1(VALU_DEP_4)
	v_fma_mixhi_f16 v3, s10, v11, v8
	v_fma_mixhi_f16 v2, s10, v9, v10
	s_clause 0x1
	buffer_store_b64 v[0:1], v14, s[20:23], null offen
	buffer_store_b64 v[2:3], v12, s[20:23], null offen
	s_nop 0
	s_sendmsg sendmsg(MSG_DEALLOC_VGPRS)
	s_endpgm
	.section	.rodata,"a",@progbits
	.p2align	6, 0x0
	.amdhsa_kernel _ZN2ck35kernel_gemm_multiple_d_xdl_cshuffleINS_34GridwiseGemmMultipleD_xdl_cshuffleIDF16_DF16_DF16_ffNS_5TupleIJDF16_EEEDF16_NS_16tensor_operation12element_wise11PassThroughES6_12AlphaBetaAddLi1ELi256ELi256ELi128ELi32ELi8ELi8ELi16ELi16ELi8ELi2ENS_8SequenceIJLi4ELi64ELi1EEEENS8_IJLi1ELi0ELi2EEEESA_Li2ELi8ELi8ELb0ELi1ES9_SA_SA_Li2ELi8ELi8ELb0ELi1ELi1ELi1ENS8_IJLi1ELi32ELi1ELi8EEEELi4ELNS_13LoopSchedulerE0ELNS_15PipelineVersionE0EDF16_Lb0EEEDF16_DF16_NS2_IJPKDF16_EEEDF16_S6_S6_S7_NS_16TensorDescriptorINS2_IJNS_5EmbedINS2_IJiiEEENS2_IJiNS_17integral_constantIiLi1EEEEEELb0EEENS_8RightPadIiiLb0EEESQ_NS_7UnMergeINS2_IJiNSL_IiLi8EEEEEELb0EEENS_11PassThroughIiEEEEENS2_IJNS8_IJLi0EEEENS8_IJLi1EEEENS8_IJLi2EEEENS8_IJLi4EEEENS8_IJLi3EEEEEEENS2_IJNS8_IJLi1ELi2EEEES12_S11_NS8_IJLi5ELi6EEEENS8_IJLi7EEEEEEENS8_IJLi5ELi7ELi6EEEElEES19_NS2_IJNSI_INS2_IJSO_SQ_SQ_NSR_INS2_IJiNSL_IiLi256EEEEEELb0EEENSR_INS2_IJiNSL_IiLi128EEEEEELb0EEEEEENS2_IJSY_SZ_S10_S12_S11_EEENS2_IJS14_S12_S11_S15_NS8_IJLi7ELi8EEEEEEENS8_IJLi5ELi6ELi7ELi8EEEElEEEEES1L_NS_31BlockToCTileMap_M00_N0_M01AdaptILi256ELi128ENSI_INS2_IJSO_SQ_SQ_EEENS2_IJSY_SZ_S10_EEENS2_IJS14_S12_S11_EEENS8_IJLi3ELi4EEEElEEiEELb0EEEvPKT0_PKT1_T2_PT3_T4_T5_T6_T7_T8_T9_T10_T11_
		.amdhsa_group_segment_fixed_size 24672
		.amdhsa_private_segment_fixed_size 0
		.amdhsa_kernarg_size 364
		.amdhsa_user_sgpr_count 2
		.amdhsa_user_sgpr_dispatch_ptr 0
		.amdhsa_user_sgpr_queue_ptr 0
		.amdhsa_user_sgpr_kernarg_segment_ptr 1
		.amdhsa_user_sgpr_dispatch_id 0
		.amdhsa_user_sgpr_private_segment_size 0
		.amdhsa_wavefront_size32 1
		.amdhsa_uses_dynamic_stack 0
		.amdhsa_enable_private_segment 0
		.amdhsa_system_sgpr_workgroup_id_x 1
		.amdhsa_system_sgpr_workgroup_id_y 0
		.amdhsa_system_sgpr_workgroup_id_z 0
		.amdhsa_system_sgpr_workgroup_info 0
		.amdhsa_system_vgpr_workitem_id 0
		.amdhsa_next_free_vgpr 121
		.amdhsa_next_free_sgpr 29
		.amdhsa_reserve_vcc 1
		.amdhsa_float_round_mode_32 0
		.amdhsa_float_round_mode_16_64 0
		.amdhsa_float_denorm_mode_32 3
		.amdhsa_float_denorm_mode_16_64 3
		.amdhsa_fp16_overflow 0
		.amdhsa_workgroup_processor_mode 1
		.amdhsa_memory_ordered 1
		.amdhsa_forward_progress 1
		.amdhsa_inst_pref_size 68
		.amdhsa_round_robin_scheduling 0
		.amdhsa_exception_fp_ieee_invalid_op 0
		.amdhsa_exception_fp_denorm_src 0
		.amdhsa_exception_fp_ieee_div_zero 0
		.amdhsa_exception_fp_ieee_overflow 0
		.amdhsa_exception_fp_ieee_underflow 0
		.amdhsa_exception_fp_ieee_inexact 0
		.amdhsa_exception_int_div_zero 0
	.end_amdhsa_kernel
	.section	.text._ZN2ck35kernel_gemm_multiple_d_xdl_cshuffleINS_34GridwiseGemmMultipleD_xdl_cshuffleIDF16_DF16_DF16_ffNS_5TupleIJDF16_EEEDF16_NS_16tensor_operation12element_wise11PassThroughES6_12AlphaBetaAddLi1ELi256ELi256ELi128ELi32ELi8ELi8ELi16ELi16ELi8ELi2ENS_8SequenceIJLi4ELi64ELi1EEEENS8_IJLi1ELi0ELi2EEEESA_Li2ELi8ELi8ELb0ELi1ES9_SA_SA_Li2ELi8ELi8ELb0ELi1ELi1ELi1ENS8_IJLi1ELi32ELi1ELi8EEEELi4ELNS_13LoopSchedulerE0ELNS_15PipelineVersionE0EDF16_Lb0EEEDF16_DF16_NS2_IJPKDF16_EEEDF16_S6_S6_S7_NS_16TensorDescriptorINS2_IJNS_5EmbedINS2_IJiiEEENS2_IJiNS_17integral_constantIiLi1EEEEEELb0EEENS_8RightPadIiiLb0EEESQ_NS_7UnMergeINS2_IJiNSL_IiLi8EEEEEELb0EEENS_11PassThroughIiEEEEENS2_IJNS8_IJLi0EEEENS8_IJLi1EEEENS8_IJLi2EEEENS8_IJLi4EEEENS8_IJLi3EEEEEEENS2_IJNS8_IJLi1ELi2EEEES12_S11_NS8_IJLi5ELi6EEEENS8_IJLi7EEEEEEENS8_IJLi5ELi7ELi6EEEElEES19_NS2_IJNSI_INS2_IJSO_SQ_SQ_NSR_INS2_IJiNSL_IiLi256EEEEEELb0EEENSR_INS2_IJiNSL_IiLi128EEEEEELb0EEEEEENS2_IJSY_SZ_S10_S12_S11_EEENS2_IJS14_S12_S11_S15_NS8_IJLi7ELi8EEEEEEENS8_IJLi5ELi6ELi7ELi8EEEElEEEEES1L_NS_31BlockToCTileMap_M00_N0_M01AdaptILi256ELi128ENSI_INS2_IJSO_SQ_SQ_EEENS2_IJSY_SZ_S10_EEENS2_IJS14_S12_S11_EEENS8_IJLi3ELi4EEEElEEiEELb0EEEvPKT0_PKT1_T2_PT3_T4_T5_T6_T7_T8_T9_T10_T11_,"axG",@progbits,_ZN2ck35kernel_gemm_multiple_d_xdl_cshuffleINS_34GridwiseGemmMultipleD_xdl_cshuffleIDF16_DF16_DF16_ffNS_5TupleIJDF16_EEEDF16_NS_16tensor_operation12element_wise11PassThroughES6_12AlphaBetaAddLi1ELi256ELi256ELi128ELi32ELi8ELi8ELi16ELi16ELi8ELi2ENS_8SequenceIJLi4ELi64ELi1EEEENS8_IJLi1ELi0ELi2EEEESA_Li2ELi8ELi8ELb0ELi1ES9_SA_SA_Li2ELi8ELi8ELb0ELi1ELi1ELi1ENS8_IJLi1ELi32ELi1ELi8EEEELi4ELNS_13LoopSchedulerE0ELNS_15PipelineVersionE0EDF16_Lb0EEEDF16_DF16_NS2_IJPKDF16_EEEDF16_S6_S6_S7_NS_16TensorDescriptorINS2_IJNS_5EmbedINS2_IJiiEEENS2_IJiNS_17integral_constantIiLi1EEEEEELb0EEENS_8RightPadIiiLb0EEESQ_NS_7UnMergeINS2_IJiNSL_IiLi8EEEEEELb0EEENS_11PassThroughIiEEEEENS2_IJNS8_IJLi0EEEENS8_IJLi1EEEENS8_IJLi2EEEENS8_IJLi4EEEENS8_IJLi3EEEEEEENS2_IJNS8_IJLi1ELi2EEEES12_S11_NS8_IJLi5ELi6EEEENS8_IJLi7EEEEEEENS8_IJLi5ELi7ELi6EEEElEES19_NS2_IJNSI_INS2_IJSO_SQ_SQ_NSR_INS2_IJiNSL_IiLi256EEEEEELb0EEENSR_INS2_IJiNSL_IiLi128EEEEEELb0EEEEEENS2_IJSY_SZ_S10_S12_S11_EEENS2_IJS14_S12_S11_S15_NS8_IJLi7ELi8EEEEEEENS8_IJLi5ELi6ELi7ELi8EEEElEEEEES1L_NS_31BlockToCTileMap_M00_N0_M01AdaptILi256ELi128ENSI_INS2_IJSO_SQ_SQ_EEENS2_IJSY_SZ_S10_EEENS2_IJS14_S12_S11_EEENS8_IJLi3ELi4EEEElEEiEELb0EEEvPKT0_PKT1_T2_PT3_T4_T5_T6_T7_T8_T9_T10_T11_,comdat
.Lfunc_end4:
	.size	_ZN2ck35kernel_gemm_multiple_d_xdl_cshuffleINS_34GridwiseGemmMultipleD_xdl_cshuffleIDF16_DF16_DF16_ffNS_5TupleIJDF16_EEEDF16_NS_16tensor_operation12element_wise11PassThroughES6_12AlphaBetaAddLi1ELi256ELi256ELi128ELi32ELi8ELi8ELi16ELi16ELi8ELi2ENS_8SequenceIJLi4ELi64ELi1EEEENS8_IJLi1ELi0ELi2EEEESA_Li2ELi8ELi8ELb0ELi1ES9_SA_SA_Li2ELi8ELi8ELb0ELi1ELi1ELi1ENS8_IJLi1ELi32ELi1ELi8EEEELi4ELNS_13LoopSchedulerE0ELNS_15PipelineVersionE0EDF16_Lb0EEEDF16_DF16_NS2_IJPKDF16_EEEDF16_S6_S6_S7_NS_16TensorDescriptorINS2_IJNS_5EmbedINS2_IJiiEEENS2_IJiNS_17integral_constantIiLi1EEEEEELb0EEENS_8RightPadIiiLb0EEESQ_NS_7UnMergeINS2_IJiNSL_IiLi8EEEEEELb0EEENS_11PassThroughIiEEEEENS2_IJNS8_IJLi0EEEENS8_IJLi1EEEENS8_IJLi2EEEENS8_IJLi4EEEENS8_IJLi3EEEEEEENS2_IJNS8_IJLi1ELi2EEEES12_S11_NS8_IJLi5ELi6EEEENS8_IJLi7EEEEEEENS8_IJLi5ELi7ELi6EEEElEES19_NS2_IJNSI_INS2_IJSO_SQ_SQ_NSR_INS2_IJiNSL_IiLi256EEEEEELb0EEENSR_INS2_IJiNSL_IiLi128EEEEEELb0EEEEEENS2_IJSY_SZ_S10_S12_S11_EEENS2_IJS14_S12_S11_S15_NS8_IJLi7ELi8EEEEEEENS8_IJLi5ELi6ELi7ELi8EEEElEEEEES1L_NS_31BlockToCTileMap_M00_N0_M01AdaptILi256ELi128ENSI_INS2_IJSO_SQ_SQ_EEENS2_IJSY_SZ_S10_EEENS2_IJS14_S12_S11_EEENS8_IJLi3ELi4EEEElEEiEELb0EEEvPKT0_PKT1_T2_PT3_T4_T5_T6_T7_T8_T9_T10_T11_, .Lfunc_end4-_ZN2ck35kernel_gemm_multiple_d_xdl_cshuffleINS_34GridwiseGemmMultipleD_xdl_cshuffleIDF16_DF16_DF16_ffNS_5TupleIJDF16_EEEDF16_NS_16tensor_operation12element_wise11PassThroughES6_12AlphaBetaAddLi1ELi256ELi256ELi128ELi32ELi8ELi8ELi16ELi16ELi8ELi2ENS_8SequenceIJLi4ELi64ELi1EEEENS8_IJLi1ELi0ELi2EEEESA_Li2ELi8ELi8ELb0ELi1ES9_SA_SA_Li2ELi8ELi8ELb0ELi1ELi1ELi1ENS8_IJLi1ELi32ELi1ELi8EEEELi4ELNS_13LoopSchedulerE0ELNS_15PipelineVersionE0EDF16_Lb0EEEDF16_DF16_NS2_IJPKDF16_EEEDF16_S6_S6_S7_NS_16TensorDescriptorINS2_IJNS_5EmbedINS2_IJiiEEENS2_IJiNS_17integral_constantIiLi1EEEEEELb0EEENS_8RightPadIiiLb0EEESQ_NS_7UnMergeINS2_IJiNSL_IiLi8EEEEEELb0EEENS_11PassThroughIiEEEEENS2_IJNS8_IJLi0EEEENS8_IJLi1EEEENS8_IJLi2EEEENS8_IJLi4EEEENS8_IJLi3EEEEEEENS2_IJNS8_IJLi1ELi2EEEES12_S11_NS8_IJLi5ELi6EEEENS8_IJLi7EEEEEEENS8_IJLi5ELi7ELi6EEEElEES19_NS2_IJNSI_INS2_IJSO_SQ_SQ_NSR_INS2_IJiNSL_IiLi256EEEEEELb0EEENSR_INS2_IJiNSL_IiLi128EEEEEELb0EEEEEENS2_IJSY_SZ_S10_S12_S11_EEENS2_IJS14_S12_S11_S15_NS8_IJLi7ELi8EEEEEEENS8_IJLi5ELi6ELi7ELi8EEEElEEEEES1L_NS_31BlockToCTileMap_M00_N0_M01AdaptILi256ELi128ENSI_INS2_IJSO_SQ_SQ_EEENS2_IJSY_SZ_S10_EEENS2_IJS14_S12_S11_EEENS8_IJLi3ELi4EEEElEEiEELb0EEEvPKT0_PKT1_T2_PT3_T4_T5_T6_T7_T8_T9_T10_T11_
                                        ; -- End function
	.set _ZN2ck35kernel_gemm_multiple_d_xdl_cshuffleINS_34GridwiseGemmMultipleD_xdl_cshuffleIDF16_DF16_DF16_ffNS_5TupleIJDF16_EEEDF16_NS_16tensor_operation12element_wise11PassThroughES6_12AlphaBetaAddLi1ELi256ELi256ELi128ELi32ELi8ELi8ELi16ELi16ELi8ELi2ENS_8SequenceIJLi4ELi64ELi1EEEENS8_IJLi1ELi0ELi2EEEESA_Li2ELi8ELi8ELb0ELi1ES9_SA_SA_Li2ELi8ELi8ELb0ELi1ELi1ELi1ENS8_IJLi1ELi32ELi1ELi8EEEELi4ELNS_13LoopSchedulerE0ELNS_15PipelineVersionE0EDF16_Lb0EEEDF16_DF16_NS2_IJPKDF16_EEEDF16_S6_S6_S7_NS_16TensorDescriptorINS2_IJNS_5EmbedINS2_IJiiEEENS2_IJiNS_17integral_constantIiLi1EEEEEELb0EEENS_8RightPadIiiLb0EEESQ_NS_7UnMergeINS2_IJiNSL_IiLi8EEEEEELb0EEENS_11PassThroughIiEEEEENS2_IJNS8_IJLi0EEEENS8_IJLi1EEEENS8_IJLi2EEEENS8_IJLi4EEEENS8_IJLi3EEEEEEENS2_IJNS8_IJLi1ELi2EEEES12_S11_NS8_IJLi5ELi6EEEENS8_IJLi7EEEEEEENS8_IJLi5ELi7ELi6EEEElEES19_NS2_IJNSI_INS2_IJSO_SQ_SQ_NSR_INS2_IJiNSL_IiLi256EEEEEELb0EEENSR_INS2_IJiNSL_IiLi128EEEEEELb0EEEEEENS2_IJSY_SZ_S10_S12_S11_EEENS2_IJS14_S12_S11_S15_NS8_IJLi7ELi8EEEEEEENS8_IJLi5ELi6ELi7ELi8EEEElEEEEES1L_NS_31BlockToCTileMap_M00_N0_M01AdaptILi256ELi128ENSI_INS2_IJSO_SQ_SQ_EEENS2_IJSY_SZ_S10_EEENS2_IJS14_S12_S11_EEENS8_IJLi3ELi4EEEElEEiEELb0EEEvPKT0_PKT1_T2_PT3_T4_T5_T6_T7_T8_T9_T10_T11_.num_vgpr, 111
	.set _ZN2ck35kernel_gemm_multiple_d_xdl_cshuffleINS_34GridwiseGemmMultipleD_xdl_cshuffleIDF16_DF16_DF16_ffNS_5TupleIJDF16_EEEDF16_NS_16tensor_operation12element_wise11PassThroughES6_12AlphaBetaAddLi1ELi256ELi256ELi128ELi32ELi8ELi8ELi16ELi16ELi8ELi2ENS_8SequenceIJLi4ELi64ELi1EEEENS8_IJLi1ELi0ELi2EEEESA_Li2ELi8ELi8ELb0ELi1ES9_SA_SA_Li2ELi8ELi8ELb0ELi1ELi1ELi1ENS8_IJLi1ELi32ELi1ELi8EEEELi4ELNS_13LoopSchedulerE0ELNS_15PipelineVersionE0EDF16_Lb0EEEDF16_DF16_NS2_IJPKDF16_EEEDF16_S6_S6_S7_NS_16TensorDescriptorINS2_IJNS_5EmbedINS2_IJiiEEENS2_IJiNS_17integral_constantIiLi1EEEEEELb0EEENS_8RightPadIiiLb0EEESQ_NS_7UnMergeINS2_IJiNSL_IiLi8EEEEEELb0EEENS_11PassThroughIiEEEEENS2_IJNS8_IJLi0EEEENS8_IJLi1EEEENS8_IJLi2EEEENS8_IJLi4EEEENS8_IJLi3EEEEEEENS2_IJNS8_IJLi1ELi2EEEES12_S11_NS8_IJLi5ELi6EEEENS8_IJLi7EEEEEEENS8_IJLi5ELi7ELi6EEEElEES19_NS2_IJNSI_INS2_IJSO_SQ_SQ_NSR_INS2_IJiNSL_IiLi256EEEEEELb0EEENSR_INS2_IJiNSL_IiLi128EEEEEELb0EEEEEENS2_IJSY_SZ_S10_S12_S11_EEENS2_IJS14_S12_S11_S15_NS8_IJLi7ELi8EEEEEEENS8_IJLi5ELi6ELi7ELi8EEEElEEEEES1L_NS_31BlockToCTileMap_M00_N0_M01AdaptILi256ELi128ENSI_INS2_IJSO_SQ_SQ_EEENS2_IJSY_SZ_S10_EEENS2_IJS14_S12_S11_EEENS8_IJLi3ELi4EEEElEEiEELb0EEEvPKT0_PKT1_T2_PT3_T4_T5_T6_T7_T8_T9_T10_T11_.num_agpr, 0
	.set _ZN2ck35kernel_gemm_multiple_d_xdl_cshuffleINS_34GridwiseGemmMultipleD_xdl_cshuffleIDF16_DF16_DF16_ffNS_5TupleIJDF16_EEEDF16_NS_16tensor_operation12element_wise11PassThroughES6_12AlphaBetaAddLi1ELi256ELi256ELi128ELi32ELi8ELi8ELi16ELi16ELi8ELi2ENS_8SequenceIJLi4ELi64ELi1EEEENS8_IJLi1ELi0ELi2EEEESA_Li2ELi8ELi8ELb0ELi1ES9_SA_SA_Li2ELi8ELi8ELb0ELi1ELi1ELi1ENS8_IJLi1ELi32ELi1ELi8EEEELi4ELNS_13LoopSchedulerE0ELNS_15PipelineVersionE0EDF16_Lb0EEEDF16_DF16_NS2_IJPKDF16_EEEDF16_S6_S6_S7_NS_16TensorDescriptorINS2_IJNS_5EmbedINS2_IJiiEEENS2_IJiNS_17integral_constantIiLi1EEEEEELb0EEENS_8RightPadIiiLb0EEESQ_NS_7UnMergeINS2_IJiNSL_IiLi8EEEEEELb0EEENS_11PassThroughIiEEEEENS2_IJNS8_IJLi0EEEENS8_IJLi1EEEENS8_IJLi2EEEENS8_IJLi4EEEENS8_IJLi3EEEEEEENS2_IJNS8_IJLi1ELi2EEEES12_S11_NS8_IJLi5ELi6EEEENS8_IJLi7EEEEEEENS8_IJLi5ELi7ELi6EEEElEES19_NS2_IJNSI_INS2_IJSO_SQ_SQ_NSR_INS2_IJiNSL_IiLi256EEEEEELb0EEENSR_INS2_IJiNSL_IiLi128EEEEEELb0EEEEEENS2_IJSY_SZ_S10_S12_S11_EEENS2_IJS14_S12_S11_S15_NS8_IJLi7ELi8EEEEEEENS8_IJLi5ELi6ELi7ELi8EEEElEEEEES1L_NS_31BlockToCTileMap_M00_N0_M01AdaptILi256ELi128ENSI_INS2_IJSO_SQ_SQ_EEENS2_IJSY_SZ_S10_EEENS2_IJS14_S12_S11_EEENS8_IJLi3ELi4EEEElEEiEELb0EEEvPKT0_PKT1_T2_PT3_T4_T5_T6_T7_T8_T9_T10_T11_.numbered_sgpr, 29
	.set _ZN2ck35kernel_gemm_multiple_d_xdl_cshuffleINS_34GridwiseGemmMultipleD_xdl_cshuffleIDF16_DF16_DF16_ffNS_5TupleIJDF16_EEEDF16_NS_16tensor_operation12element_wise11PassThroughES6_12AlphaBetaAddLi1ELi256ELi256ELi128ELi32ELi8ELi8ELi16ELi16ELi8ELi2ENS_8SequenceIJLi4ELi64ELi1EEEENS8_IJLi1ELi0ELi2EEEESA_Li2ELi8ELi8ELb0ELi1ES9_SA_SA_Li2ELi8ELi8ELb0ELi1ELi1ELi1ENS8_IJLi1ELi32ELi1ELi8EEEELi4ELNS_13LoopSchedulerE0ELNS_15PipelineVersionE0EDF16_Lb0EEEDF16_DF16_NS2_IJPKDF16_EEEDF16_S6_S6_S7_NS_16TensorDescriptorINS2_IJNS_5EmbedINS2_IJiiEEENS2_IJiNS_17integral_constantIiLi1EEEEEELb0EEENS_8RightPadIiiLb0EEESQ_NS_7UnMergeINS2_IJiNSL_IiLi8EEEEEELb0EEENS_11PassThroughIiEEEEENS2_IJNS8_IJLi0EEEENS8_IJLi1EEEENS8_IJLi2EEEENS8_IJLi4EEEENS8_IJLi3EEEEEEENS2_IJNS8_IJLi1ELi2EEEES12_S11_NS8_IJLi5ELi6EEEENS8_IJLi7EEEEEEENS8_IJLi5ELi7ELi6EEEElEES19_NS2_IJNSI_INS2_IJSO_SQ_SQ_NSR_INS2_IJiNSL_IiLi256EEEEEELb0EEENSR_INS2_IJiNSL_IiLi128EEEEEELb0EEEEEENS2_IJSY_SZ_S10_S12_S11_EEENS2_IJS14_S12_S11_S15_NS8_IJLi7ELi8EEEEEEENS8_IJLi5ELi6ELi7ELi8EEEElEEEEES1L_NS_31BlockToCTileMap_M00_N0_M01AdaptILi256ELi128ENSI_INS2_IJSO_SQ_SQ_EEENS2_IJSY_SZ_S10_EEENS2_IJS14_S12_S11_EEENS8_IJLi3ELi4EEEElEEiEELb0EEEvPKT0_PKT1_T2_PT3_T4_T5_T6_T7_T8_T9_T10_T11_.num_named_barrier, 0
	.set _ZN2ck35kernel_gemm_multiple_d_xdl_cshuffleINS_34GridwiseGemmMultipleD_xdl_cshuffleIDF16_DF16_DF16_ffNS_5TupleIJDF16_EEEDF16_NS_16tensor_operation12element_wise11PassThroughES6_12AlphaBetaAddLi1ELi256ELi256ELi128ELi32ELi8ELi8ELi16ELi16ELi8ELi2ENS_8SequenceIJLi4ELi64ELi1EEEENS8_IJLi1ELi0ELi2EEEESA_Li2ELi8ELi8ELb0ELi1ES9_SA_SA_Li2ELi8ELi8ELb0ELi1ELi1ELi1ENS8_IJLi1ELi32ELi1ELi8EEEELi4ELNS_13LoopSchedulerE0ELNS_15PipelineVersionE0EDF16_Lb0EEEDF16_DF16_NS2_IJPKDF16_EEEDF16_S6_S6_S7_NS_16TensorDescriptorINS2_IJNS_5EmbedINS2_IJiiEEENS2_IJiNS_17integral_constantIiLi1EEEEEELb0EEENS_8RightPadIiiLb0EEESQ_NS_7UnMergeINS2_IJiNSL_IiLi8EEEEEELb0EEENS_11PassThroughIiEEEEENS2_IJNS8_IJLi0EEEENS8_IJLi1EEEENS8_IJLi2EEEENS8_IJLi4EEEENS8_IJLi3EEEEEEENS2_IJNS8_IJLi1ELi2EEEES12_S11_NS8_IJLi5ELi6EEEENS8_IJLi7EEEEEEENS8_IJLi5ELi7ELi6EEEElEES19_NS2_IJNSI_INS2_IJSO_SQ_SQ_NSR_INS2_IJiNSL_IiLi256EEEEEELb0EEENSR_INS2_IJiNSL_IiLi128EEEEEELb0EEEEEENS2_IJSY_SZ_S10_S12_S11_EEENS2_IJS14_S12_S11_S15_NS8_IJLi7ELi8EEEEEEENS8_IJLi5ELi6ELi7ELi8EEEElEEEEES1L_NS_31BlockToCTileMap_M00_N0_M01AdaptILi256ELi128ENSI_INS2_IJSO_SQ_SQ_EEENS2_IJSY_SZ_S10_EEENS2_IJS14_S12_S11_EEENS8_IJLi3ELi4EEEElEEiEELb0EEEvPKT0_PKT1_T2_PT3_T4_T5_T6_T7_T8_T9_T10_T11_.private_seg_size, 0
	.set _ZN2ck35kernel_gemm_multiple_d_xdl_cshuffleINS_34GridwiseGemmMultipleD_xdl_cshuffleIDF16_DF16_DF16_ffNS_5TupleIJDF16_EEEDF16_NS_16tensor_operation12element_wise11PassThroughES6_12AlphaBetaAddLi1ELi256ELi256ELi128ELi32ELi8ELi8ELi16ELi16ELi8ELi2ENS_8SequenceIJLi4ELi64ELi1EEEENS8_IJLi1ELi0ELi2EEEESA_Li2ELi8ELi8ELb0ELi1ES9_SA_SA_Li2ELi8ELi8ELb0ELi1ELi1ELi1ENS8_IJLi1ELi32ELi1ELi8EEEELi4ELNS_13LoopSchedulerE0ELNS_15PipelineVersionE0EDF16_Lb0EEEDF16_DF16_NS2_IJPKDF16_EEEDF16_S6_S6_S7_NS_16TensorDescriptorINS2_IJNS_5EmbedINS2_IJiiEEENS2_IJiNS_17integral_constantIiLi1EEEEEELb0EEENS_8RightPadIiiLb0EEESQ_NS_7UnMergeINS2_IJiNSL_IiLi8EEEEEELb0EEENS_11PassThroughIiEEEEENS2_IJNS8_IJLi0EEEENS8_IJLi1EEEENS8_IJLi2EEEENS8_IJLi4EEEENS8_IJLi3EEEEEEENS2_IJNS8_IJLi1ELi2EEEES12_S11_NS8_IJLi5ELi6EEEENS8_IJLi7EEEEEEENS8_IJLi5ELi7ELi6EEEElEES19_NS2_IJNSI_INS2_IJSO_SQ_SQ_NSR_INS2_IJiNSL_IiLi256EEEEEELb0EEENSR_INS2_IJiNSL_IiLi128EEEEEELb0EEEEEENS2_IJSY_SZ_S10_S12_S11_EEENS2_IJS14_S12_S11_S15_NS8_IJLi7ELi8EEEEEEENS8_IJLi5ELi6ELi7ELi8EEEElEEEEES1L_NS_31BlockToCTileMap_M00_N0_M01AdaptILi256ELi128ENSI_INS2_IJSO_SQ_SQ_EEENS2_IJSY_SZ_S10_EEENS2_IJS14_S12_S11_EEENS8_IJLi3ELi4EEEElEEiEELb0EEEvPKT0_PKT1_T2_PT3_T4_T5_T6_T7_T8_T9_T10_T11_.uses_vcc, 1
	.set _ZN2ck35kernel_gemm_multiple_d_xdl_cshuffleINS_34GridwiseGemmMultipleD_xdl_cshuffleIDF16_DF16_DF16_ffNS_5TupleIJDF16_EEEDF16_NS_16tensor_operation12element_wise11PassThroughES6_12AlphaBetaAddLi1ELi256ELi256ELi128ELi32ELi8ELi8ELi16ELi16ELi8ELi2ENS_8SequenceIJLi4ELi64ELi1EEEENS8_IJLi1ELi0ELi2EEEESA_Li2ELi8ELi8ELb0ELi1ES9_SA_SA_Li2ELi8ELi8ELb0ELi1ELi1ELi1ENS8_IJLi1ELi32ELi1ELi8EEEELi4ELNS_13LoopSchedulerE0ELNS_15PipelineVersionE0EDF16_Lb0EEEDF16_DF16_NS2_IJPKDF16_EEEDF16_S6_S6_S7_NS_16TensorDescriptorINS2_IJNS_5EmbedINS2_IJiiEEENS2_IJiNS_17integral_constantIiLi1EEEEEELb0EEENS_8RightPadIiiLb0EEESQ_NS_7UnMergeINS2_IJiNSL_IiLi8EEEEEELb0EEENS_11PassThroughIiEEEEENS2_IJNS8_IJLi0EEEENS8_IJLi1EEEENS8_IJLi2EEEENS8_IJLi4EEEENS8_IJLi3EEEEEEENS2_IJNS8_IJLi1ELi2EEEES12_S11_NS8_IJLi5ELi6EEEENS8_IJLi7EEEEEEENS8_IJLi5ELi7ELi6EEEElEES19_NS2_IJNSI_INS2_IJSO_SQ_SQ_NSR_INS2_IJiNSL_IiLi256EEEEEELb0EEENSR_INS2_IJiNSL_IiLi128EEEEEELb0EEEEEENS2_IJSY_SZ_S10_S12_S11_EEENS2_IJS14_S12_S11_S15_NS8_IJLi7ELi8EEEEEEENS8_IJLi5ELi6ELi7ELi8EEEElEEEEES1L_NS_31BlockToCTileMap_M00_N0_M01AdaptILi256ELi128ENSI_INS2_IJSO_SQ_SQ_EEENS2_IJSY_SZ_S10_EEENS2_IJS14_S12_S11_EEENS8_IJLi3ELi4EEEElEEiEELb0EEEvPKT0_PKT1_T2_PT3_T4_T5_T6_T7_T8_T9_T10_T11_.uses_flat_scratch, 0
	.set _ZN2ck35kernel_gemm_multiple_d_xdl_cshuffleINS_34GridwiseGemmMultipleD_xdl_cshuffleIDF16_DF16_DF16_ffNS_5TupleIJDF16_EEEDF16_NS_16tensor_operation12element_wise11PassThroughES6_12AlphaBetaAddLi1ELi256ELi256ELi128ELi32ELi8ELi8ELi16ELi16ELi8ELi2ENS_8SequenceIJLi4ELi64ELi1EEEENS8_IJLi1ELi0ELi2EEEESA_Li2ELi8ELi8ELb0ELi1ES9_SA_SA_Li2ELi8ELi8ELb0ELi1ELi1ELi1ENS8_IJLi1ELi32ELi1ELi8EEEELi4ELNS_13LoopSchedulerE0ELNS_15PipelineVersionE0EDF16_Lb0EEEDF16_DF16_NS2_IJPKDF16_EEEDF16_S6_S6_S7_NS_16TensorDescriptorINS2_IJNS_5EmbedINS2_IJiiEEENS2_IJiNS_17integral_constantIiLi1EEEEEELb0EEENS_8RightPadIiiLb0EEESQ_NS_7UnMergeINS2_IJiNSL_IiLi8EEEEEELb0EEENS_11PassThroughIiEEEEENS2_IJNS8_IJLi0EEEENS8_IJLi1EEEENS8_IJLi2EEEENS8_IJLi4EEEENS8_IJLi3EEEEEEENS2_IJNS8_IJLi1ELi2EEEES12_S11_NS8_IJLi5ELi6EEEENS8_IJLi7EEEEEEENS8_IJLi5ELi7ELi6EEEElEES19_NS2_IJNSI_INS2_IJSO_SQ_SQ_NSR_INS2_IJiNSL_IiLi256EEEEEELb0EEENSR_INS2_IJiNSL_IiLi128EEEEEELb0EEEEEENS2_IJSY_SZ_S10_S12_S11_EEENS2_IJS14_S12_S11_S15_NS8_IJLi7ELi8EEEEEEENS8_IJLi5ELi6ELi7ELi8EEEElEEEEES1L_NS_31BlockToCTileMap_M00_N0_M01AdaptILi256ELi128ENSI_INS2_IJSO_SQ_SQ_EEENS2_IJSY_SZ_S10_EEENS2_IJS14_S12_S11_EEENS8_IJLi3ELi4EEEElEEiEELb0EEEvPKT0_PKT1_T2_PT3_T4_T5_T6_T7_T8_T9_T10_T11_.has_dyn_sized_stack, 0
	.set _ZN2ck35kernel_gemm_multiple_d_xdl_cshuffleINS_34GridwiseGemmMultipleD_xdl_cshuffleIDF16_DF16_DF16_ffNS_5TupleIJDF16_EEEDF16_NS_16tensor_operation12element_wise11PassThroughES6_12AlphaBetaAddLi1ELi256ELi256ELi128ELi32ELi8ELi8ELi16ELi16ELi8ELi2ENS_8SequenceIJLi4ELi64ELi1EEEENS8_IJLi1ELi0ELi2EEEESA_Li2ELi8ELi8ELb0ELi1ES9_SA_SA_Li2ELi8ELi8ELb0ELi1ELi1ELi1ENS8_IJLi1ELi32ELi1ELi8EEEELi4ELNS_13LoopSchedulerE0ELNS_15PipelineVersionE0EDF16_Lb0EEEDF16_DF16_NS2_IJPKDF16_EEEDF16_S6_S6_S7_NS_16TensorDescriptorINS2_IJNS_5EmbedINS2_IJiiEEENS2_IJiNS_17integral_constantIiLi1EEEEEELb0EEENS_8RightPadIiiLb0EEESQ_NS_7UnMergeINS2_IJiNSL_IiLi8EEEEEELb0EEENS_11PassThroughIiEEEEENS2_IJNS8_IJLi0EEEENS8_IJLi1EEEENS8_IJLi2EEEENS8_IJLi4EEEENS8_IJLi3EEEEEEENS2_IJNS8_IJLi1ELi2EEEES12_S11_NS8_IJLi5ELi6EEEENS8_IJLi7EEEEEEENS8_IJLi5ELi7ELi6EEEElEES19_NS2_IJNSI_INS2_IJSO_SQ_SQ_NSR_INS2_IJiNSL_IiLi256EEEEEELb0EEENSR_INS2_IJiNSL_IiLi128EEEEEELb0EEEEEENS2_IJSY_SZ_S10_S12_S11_EEENS2_IJS14_S12_S11_S15_NS8_IJLi7ELi8EEEEEEENS8_IJLi5ELi6ELi7ELi8EEEElEEEEES1L_NS_31BlockToCTileMap_M00_N0_M01AdaptILi256ELi128ENSI_INS2_IJSO_SQ_SQ_EEENS2_IJSY_SZ_S10_EEENS2_IJS14_S12_S11_EEENS8_IJLi3ELi4EEEElEEiEELb0EEEvPKT0_PKT1_T2_PT3_T4_T5_T6_T7_T8_T9_T10_T11_.has_recursion, 0
	.set _ZN2ck35kernel_gemm_multiple_d_xdl_cshuffleINS_34GridwiseGemmMultipleD_xdl_cshuffleIDF16_DF16_DF16_ffNS_5TupleIJDF16_EEEDF16_NS_16tensor_operation12element_wise11PassThroughES6_12AlphaBetaAddLi1ELi256ELi256ELi128ELi32ELi8ELi8ELi16ELi16ELi8ELi2ENS_8SequenceIJLi4ELi64ELi1EEEENS8_IJLi1ELi0ELi2EEEESA_Li2ELi8ELi8ELb0ELi1ES9_SA_SA_Li2ELi8ELi8ELb0ELi1ELi1ELi1ENS8_IJLi1ELi32ELi1ELi8EEEELi4ELNS_13LoopSchedulerE0ELNS_15PipelineVersionE0EDF16_Lb0EEEDF16_DF16_NS2_IJPKDF16_EEEDF16_S6_S6_S7_NS_16TensorDescriptorINS2_IJNS_5EmbedINS2_IJiiEEENS2_IJiNS_17integral_constantIiLi1EEEEEELb0EEENS_8RightPadIiiLb0EEESQ_NS_7UnMergeINS2_IJiNSL_IiLi8EEEEEELb0EEENS_11PassThroughIiEEEEENS2_IJNS8_IJLi0EEEENS8_IJLi1EEEENS8_IJLi2EEEENS8_IJLi4EEEENS8_IJLi3EEEEEEENS2_IJNS8_IJLi1ELi2EEEES12_S11_NS8_IJLi5ELi6EEEENS8_IJLi7EEEEEEENS8_IJLi5ELi7ELi6EEEElEES19_NS2_IJNSI_INS2_IJSO_SQ_SQ_NSR_INS2_IJiNSL_IiLi256EEEEEELb0EEENSR_INS2_IJiNSL_IiLi128EEEEEELb0EEEEEENS2_IJSY_SZ_S10_S12_S11_EEENS2_IJS14_S12_S11_S15_NS8_IJLi7ELi8EEEEEEENS8_IJLi5ELi6ELi7ELi8EEEElEEEEES1L_NS_31BlockToCTileMap_M00_N0_M01AdaptILi256ELi128ENSI_INS2_IJSO_SQ_SQ_EEENS2_IJSY_SZ_S10_EEENS2_IJS14_S12_S11_EEENS8_IJLi3ELi4EEEElEEiEELb0EEEvPKT0_PKT1_T2_PT3_T4_T5_T6_T7_T8_T9_T10_T11_.has_indirect_call, 0
	.section	.AMDGPU.csdata,"",@progbits
; Kernel info:
; codeLenInByte = 8704
; TotalNumSgprs: 31
; NumVgprs: 111
; ScratchSize: 0
; MemoryBound: 0
; FloatMode: 240
; IeeeMode: 1
; LDSByteSize: 24672 bytes/workgroup (compile time only)
; SGPRBlocks: 0
; VGPRBlocks: 15
; NumSGPRsForWavesPerEU: 31
; NumVGPRsForWavesPerEU: 121
; Occupancy: 10
; WaveLimiterHint : 0
; COMPUTE_PGM_RSRC2:SCRATCH_EN: 0
; COMPUTE_PGM_RSRC2:USER_SGPR: 2
; COMPUTE_PGM_RSRC2:TRAP_HANDLER: 0
; COMPUTE_PGM_RSRC2:TGID_X_EN: 1
; COMPUTE_PGM_RSRC2:TGID_Y_EN: 0
; COMPUTE_PGM_RSRC2:TGID_Z_EN: 0
; COMPUTE_PGM_RSRC2:TIDIG_COMP_CNT: 0
	.section	.AMDGPU.gpr_maximums,"",@progbits
	.set amdgpu.max_num_vgpr, 0
	.set amdgpu.max_num_agpr, 0
	.set amdgpu.max_num_sgpr, 0
	.section	.AMDGPU.csdata,"",@progbits
	.type	__hip_cuid_36bb2a4a3a8815f7,@object ; @__hip_cuid_36bb2a4a3a8815f7
	.section	.bss,"aw",@nobits
	.globl	__hip_cuid_36bb2a4a3a8815f7
__hip_cuid_36bb2a4a3a8815f7:
	.byte	0                               ; 0x0
	.size	__hip_cuid_36bb2a4a3a8815f7, 1

	.ident	"AMD clang version 22.0.0git (https://github.com/RadeonOpenCompute/llvm-project roc-7.2.4 26084 f58b06dce1f9c15707c5f808fd002e18c2accf7e)"
	.section	".note.GNU-stack","",@progbits
	.addrsig
	.addrsig_sym __hip_cuid_36bb2a4a3a8815f7
	.amdgpu_metadata
---
amdhsa.kernels:
  - .args:           []
    .group_segment_fixed_size: 0
    .kernarg_segment_align: 4
    .kernarg_segment_size: 0
    .language:       OpenCL C
    .language_version:
      - 2
      - 0
    .max_flat_workgroup_size: 1024
    .name:           _ZN2ckL12flush_icacheEv
    .private_segment_fixed_size: 0
    .sgpr_count:     0
    .sgpr_spill_count: 0
    .symbol:         _ZN2ckL12flush_icacheEv.kd
    .uniform_work_group_size: 1
    .uses_dynamic_stack: false
    .vgpr_count:     0
    .vgpr_spill_count: 0
    .wavefront_size: 32
    .workgroup_processor_mode: 1
  - .args:
      - .actual_access:  read_only
        .address_space:  global
        .offset:         0
        .size:           8
        .value_kind:     global_buffer
      - .actual_access:  read_only
        .address_space:  global
        .offset:         8
        .size:           8
        .value_kind:     global_buffer
      - .address_space:  global
        .offset:         16
        .size:           8
        .value_kind:     global_buffer
      - .actual_access:  read_only
        .address_space:  global
        .offset:         24
        .size:           8
        .value_kind:     global_buffer
      - .offset:         32
        .size:           1
        .value_kind:     by_value
      - .offset:         33
        .size:           1
        .value_kind:     by_value
      - .offset:         36
        .size:           8
        .value_kind:     by_value
      - .offset:         48
        .size:           72
        .value_kind:     by_value
      - .offset:         120
        .size:           72
        .value_kind:     by_value
      - .offset:         192
        .size:           80
        .value_kind:     by_value
      - .offset:         272
        .size:           80
        .value_kind:     by_value
      - .offset:         352
        .size:           12
        .value_kind:     by_value
    .group_segment_fixed_size: 0
    .kernarg_segment_align: 8
    .kernarg_segment_size: 364
    .language:       OpenCL C
    .language_version:
      - 2
      - 0
    .max_flat_workgroup_size: 256
    .name:           _ZN2ck35kernel_gemm_multiple_d_xdl_cshuffleINS_34GridwiseGemmMultipleD_xdl_cshuffleIDF16_DF16_DF16_ffNS_5TupleIJDF16_EEEDF16_NS_16tensor_operation12element_wise11PassThroughES6_12AlphaBetaAddLi1ELi256ELi256ELi128ELi32ELi8ELi8ELi16ELi16ELi8ELi4ENS_8SequenceIJLi4ELi64ELi1EEEENS8_IJLi1ELi0ELi2EEEESA_Li2ELi8ELi8ELb0ELi1ES9_SA_SA_Li2ELi8ELi8ELb0ELi1ELi1ELi1ENS8_IJLi1ELi32ELi1ELi8EEEELi4ELNS_13LoopSchedulerE0ELNS_15PipelineVersionE0EDF16_Lb0EEEDF16_DF16_NS2_IJPKDF16_EEEDF16_S6_S6_S7_NS_16TensorDescriptorINS2_IJNS_5EmbedINS2_IJiiEEENS2_IJiNS_17integral_constantIiLi1EEEEEELb0EEENS_8RightPadIiiLb0EEESQ_NS_7UnMergeINS2_IJiNSL_IiLi8EEEEEELb0EEENS_11PassThroughIiEEEEENS2_IJNS8_IJLi0EEEENS8_IJLi1EEEENS8_IJLi2EEEENS8_IJLi4EEEENS8_IJLi3EEEEEEENS2_IJNS8_IJLi1ELi2EEEES12_S11_NS8_IJLi5ELi6EEEENS8_IJLi7EEEEEEENS8_IJLi5ELi7ELi6EEEElEES19_NS2_IJNSI_INS2_IJSO_SQ_SQ_NSR_INS2_IJiNSL_IiLi256EEEEEELb0EEENSR_INS2_IJiNSL_IiLi128EEEEEELb0EEEEEENS2_IJSY_SZ_S10_S12_S11_EEENS2_IJS14_S12_S11_S15_NS8_IJLi7ELi8EEEEEEENS8_IJLi5ELi6ELi7ELi8EEEElEEEEES1L_NS_31BlockToCTileMap_M00_N0_M01AdaptILi256ELi128ENSI_INS2_IJSO_SQ_SQ_EEENS2_IJSY_SZ_S10_EEENS2_IJS14_S12_S11_EEENS8_IJLi3ELi4EEEElEEiEELb1EEEvPKT0_PKT1_T2_PT3_T4_T5_T6_T7_T8_T9_T10_T11_
    .private_segment_fixed_size: 0
    .sgpr_count:     0
    .sgpr_spill_count: 0
    .symbol:         _ZN2ck35kernel_gemm_multiple_d_xdl_cshuffleINS_34GridwiseGemmMultipleD_xdl_cshuffleIDF16_DF16_DF16_ffNS_5TupleIJDF16_EEEDF16_NS_16tensor_operation12element_wise11PassThroughES6_12AlphaBetaAddLi1ELi256ELi256ELi128ELi32ELi8ELi8ELi16ELi16ELi8ELi4ENS_8SequenceIJLi4ELi64ELi1EEEENS8_IJLi1ELi0ELi2EEEESA_Li2ELi8ELi8ELb0ELi1ES9_SA_SA_Li2ELi8ELi8ELb0ELi1ELi1ELi1ENS8_IJLi1ELi32ELi1ELi8EEEELi4ELNS_13LoopSchedulerE0ELNS_15PipelineVersionE0EDF16_Lb0EEEDF16_DF16_NS2_IJPKDF16_EEEDF16_S6_S6_S7_NS_16TensorDescriptorINS2_IJNS_5EmbedINS2_IJiiEEENS2_IJiNS_17integral_constantIiLi1EEEEEELb0EEENS_8RightPadIiiLb0EEESQ_NS_7UnMergeINS2_IJiNSL_IiLi8EEEEEELb0EEENS_11PassThroughIiEEEEENS2_IJNS8_IJLi0EEEENS8_IJLi1EEEENS8_IJLi2EEEENS8_IJLi4EEEENS8_IJLi3EEEEEEENS2_IJNS8_IJLi1ELi2EEEES12_S11_NS8_IJLi5ELi6EEEENS8_IJLi7EEEEEEENS8_IJLi5ELi7ELi6EEEElEES19_NS2_IJNSI_INS2_IJSO_SQ_SQ_NSR_INS2_IJiNSL_IiLi256EEEEEELb0EEENSR_INS2_IJiNSL_IiLi128EEEEEELb0EEEEEENS2_IJSY_SZ_S10_S12_S11_EEENS2_IJS14_S12_S11_S15_NS8_IJLi7ELi8EEEEEEENS8_IJLi5ELi6ELi7ELi8EEEElEEEEES1L_NS_31BlockToCTileMap_M00_N0_M01AdaptILi256ELi128ENSI_INS2_IJSO_SQ_SQ_EEENS2_IJSY_SZ_S10_EEENS2_IJS14_S12_S11_EEENS8_IJLi3ELi4EEEElEEiEELb1EEEvPKT0_PKT1_T2_PT3_T4_T5_T6_T7_T8_T9_T10_T11_.kd
    .uniform_work_group_size: 1
    .uses_dynamic_stack: false
    .vgpr_count:     0
    .vgpr_spill_count: 0
    .wavefront_size: 32
    .workgroup_processor_mode: 1
  - .args:
      - .actual_access:  read_only
        .address_space:  global
        .offset:         0
        .size:           8
        .value_kind:     global_buffer
      - .actual_access:  read_only
        .address_space:  global
        .offset:         8
        .size:           8
        .value_kind:     global_buffer
      - .address_space:  global
        .offset:         16
        .size:           8
        .value_kind:     global_buffer
      - .actual_access:  read_only
        .address_space:  global
        .offset:         24
        .size:           8
        .value_kind:     global_buffer
      - .offset:         32
        .size:           1
        .value_kind:     by_value
      - .offset:         33
        .size:           1
        .value_kind:     by_value
      - .offset:         36
        .size:           8
        .value_kind:     by_value
      - .offset:         48
        .size:           72
        .value_kind:     by_value
      - .offset:         120
        .size:           72
        .value_kind:     by_value
      - .offset:         192
        .size:           80
        .value_kind:     by_value
      - .offset:         272
        .size:           80
        .value_kind:     by_value
      - .offset:         352
        .size:           12
        .value_kind:     by_value
    .group_segment_fixed_size: 0
    .kernarg_segment_align: 8
    .kernarg_segment_size: 364
    .language:       OpenCL C
    .language_version:
      - 2
      - 0
    .max_flat_workgroup_size: 256
    .name:           _ZN2ck35kernel_gemm_multiple_d_xdl_cshuffleINS_34GridwiseGemmMultipleD_xdl_cshuffleIDF16_DF16_DF16_ffNS_5TupleIJDF16_EEEDF16_NS_16tensor_operation12element_wise11PassThroughES6_12AlphaBetaAddLi1ELi256ELi256ELi128ELi32ELi8ELi8ELi16ELi16ELi8ELi4ENS_8SequenceIJLi4ELi64ELi1EEEENS8_IJLi1ELi0ELi2EEEESA_Li2ELi8ELi8ELb0ELi1ES9_SA_SA_Li2ELi8ELi8ELb0ELi1ELi1ELi1ENS8_IJLi1ELi32ELi1ELi8EEEELi4ELNS_13LoopSchedulerE0ELNS_15PipelineVersionE0EDF16_Lb0EEEDF16_DF16_NS2_IJPKDF16_EEEDF16_S6_S6_S7_NS_16TensorDescriptorINS2_IJNS_5EmbedINS2_IJiiEEENS2_IJiNS_17integral_constantIiLi1EEEEEELb0EEENS_8RightPadIiiLb0EEESQ_NS_7UnMergeINS2_IJiNSL_IiLi8EEEEEELb0EEENS_11PassThroughIiEEEEENS2_IJNS8_IJLi0EEEENS8_IJLi1EEEENS8_IJLi2EEEENS8_IJLi4EEEENS8_IJLi3EEEEEEENS2_IJNS8_IJLi1ELi2EEEES12_S11_NS8_IJLi5ELi6EEEENS8_IJLi7EEEEEEENS8_IJLi5ELi7ELi6EEEElEES19_NS2_IJNSI_INS2_IJSO_SQ_SQ_NSR_INS2_IJiNSL_IiLi256EEEEEELb0EEENSR_INS2_IJiNSL_IiLi128EEEEEELb0EEEEEENS2_IJSY_SZ_S10_S12_S11_EEENS2_IJS14_S12_S11_S15_NS8_IJLi7ELi8EEEEEEENS8_IJLi5ELi6ELi7ELi8EEEElEEEEES1L_NS_31BlockToCTileMap_M00_N0_M01AdaptILi256ELi128ENSI_INS2_IJSO_SQ_SQ_EEENS2_IJSY_SZ_S10_EEENS2_IJS14_S12_S11_EEENS8_IJLi3ELi4EEEElEEiEELb0EEEvPKT0_PKT1_T2_PT3_T4_T5_T6_T7_T8_T9_T10_T11_
    .private_segment_fixed_size: 0
    .sgpr_count:     0
    .sgpr_spill_count: 0
    .symbol:         _ZN2ck35kernel_gemm_multiple_d_xdl_cshuffleINS_34GridwiseGemmMultipleD_xdl_cshuffleIDF16_DF16_DF16_ffNS_5TupleIJDF16_EEEDF16_NS_16tensor_operation12element_wise11PassThroughES6_12AlphaBetaAddLi1ELi256ELi256ELi128ELi32ELi8ELi8ELi16ELi16ELi8ELi4ENS_8SequenceIJLi4ELi64ELi1EEEENS8_IJLi1ELi0ELi2EEEESA_Li2ELi8ELi8ELb0ELi1ES9_SA_SA_Li2ELi8ELi8ELb0ELi1ELi1ELi1ENS8_IJLi1ELi32ELi1ELi8EEEELi4ELNS_13LoopSchedulerE0ELNS_15PipelineVersionE0EDF16_Lb0EEEDF16_DF16_NS2_IJPKDF16_EEEDF16_S6_S6_S7_NS_16TensorDescriptorINS2_IJNS_5EmbedINS2_IJiiEEENS2_IJiNS_17integral_constantIiLi1EEEEEELb0EEENS_8RightPadIiiLb0EEESQ_NS_7UnMergeINS2_IJiNSL_IiLi8EEEEEELb0EEENS_11PassThroughIiEEEEENS2_IJNS8_IJLi0EEEENS8_IJLi1EEEENS8_IJLi2EEEENS8_IJLi4EEEENS8_IJLi3EEEEEEENS2_IJNS8_IJLi1ELi2EEEES12_S11_NS8_IJLi5ELi6EEEENS8_IJLi7EEEEEEENS8_IJLi5ELi7ELi6EEEElEES19_NS2_IJNSI_INS2_IJSO_SQ_SQ_NSR_INS2_IJiNSL_IiLi256EEEEEELb0EEENSR_INS2_IJiNSL_IiLi128EEEEEELb0EEEEEENS2_IJSY_SZ_S10_S12_S11_EEENS2_IJS14_S12_S11_S15_NS8_IJLi7ELi8EEEEEEENS8_IJLi5ELi6ELi7ELi8EEEElEEEEES1L_NS_31BlockToCTileMap_M00_N0_M01AdaptILi256ELi128ENSI_INS2_IJSO_SQ_SQ_EEENS2_IJSY_SZ_S10_EEENS2_IJS14_S12_S11_EEENS8_IJLi3ELi4EEEElEEiEELb0EEEvPKT0_PKT1_T2_PT3_T4_T5_T6_T7_T8_T9_T10_T11_.kd
    .uniform_work_group_size: 1
    .uses_dynamic_stack: false
    .vgpr_count:     0
    .vgpr_spill_count: 0
    .wavefront_size: 32
    .workgroup_processor_mode: 1
  - .args:
      - .actual_access:  read_only
        .address_space:  global
        .offset:         0
        .size:           8
        .value_kind:     global_buffer
      - .actual_access:  read_only
        .address_space:  global
        .offset:         8
        .size:           8
        .value_kind:     global_buffer
      - .address_space:  global
        .offset:         16
        .size:           8
        .value_kind:     global_buffer
      - .actual_access:  write_only
        .address_space:  global
        .offset:         24
        .size:           8
        .value_kind:     global_buffer
      - .offset:         32
        .size:           1
        .value_kind:     by_value
      - .offset:         33
        .size:           1
        .value_kind:     by_value
      - .offset:         36
        .size:           8
        .value_kind:     by_value
      - .offset:         48
        .size:           72
        .value_kind:     by_value
      - .offset:         120
        .size:           72
        .value_kind:     by_value
      - .offset:         192
        .size:           80
        .value_kind:     by_value
      - .offset:         272
        .size:           80
        .value_kind:     by_value
      - .offset:         352
        .size:           12
        .value_kind:     by_value
    .group_segment_fixed_size: 24672
    .kernarg_segment_align: 8
    .kernarg_segment_size: 364
    .language:       OpenCL C
    .language_version:
      - 2
      - 0
    .max_flat_workgroup_size: 256
    .name:           _ZN2ck35kernel_gemm_multiple_d_xdl_cshuffleINS_34GridwiseGemmMultipleD_xdl_cshuffleIDF16_DF16_DF16_ffNS_5TupleIJDF16_EEEDF16_NS_16tensor_operation12element_wise11PassThroughES6_12AlphaBetaAddLi1ELi256ELi256ELi128ELi32ELi8ELi8ELi16ELi16ELi8ELi2ENS_8SequenceIJLi4ELi64ELi1EEEENS8_IJLi1ELi0ELi2EEEESA_Li2ELi8ELi8ELb0ELi1ES9_SA_SA_Li2ELi8ELi8ELb0ELi1ELi1ELi1ENS8_IJLi1ELi32ELi1ELi8EEEELi4ELNS_13LoopSchedulerE0ELNS_15PipelineVersionE0EDF16_Lb0EEEDF16_DF16_NS2_IJPKDF16_EEEDF16_S6_S6_S7_NS_16TensorDescriptorINS2_IJNS_5EmbedINS2_IJiiEEENS2_IJiNS_17integral_constantIiLi1EEEEEELb0EEENS_8RightPadIiiLb0EEESQ_NS_7UnMergeINS2_IJiNSL_IiLi8EEEEEELb0EEENS_11PassThroughIiEEEEENS2_IJNS8_IJLi0EEEENS8_IJLi1EEEENS8_IJLi2EEEENS8_IJLi4EEEENS8_IJLi3EEEEEEENS2_IJNS8_IJLi1ELi2EEEES12_S11_NS8_IJLi5ELi6EEEENS8_IJLi7EEEEEEENS8_IJLi5ELi7ELi6EEEElEES19_NS2_IJNSI_INS2_IJSO_SQ_SQ_NSR_INS2_IJiNSL_IiLi256EEEEEELb0EEENSR_INS2_IJiNSL_IiLi128EEEEEELb0EEEEEENS2_IJSY_SZ_S10_S12_S11_EEENS2_IJS14_S12_S11_S15_NS8_IJLi7ELi8EEEEEEENS8_IJLi5ELi6ELi7ELi8EEEElEEEEES1L_NS_31BlockToCTileMap_M00_N0_M01AdaptILi256ELi128ENSI_INS2_IJSO_SQ_SQ_EEENS2_IJSY_SZ_S10_EEENS2_IJS14_S12_S11_EEENS8_IJLi3ELi4EEEElEEiEELb1EEEvPKT0_PKT1_T2_PT3_T4_T5_T6_T7_T8_T9_T10_T11_
    .private_segment_fixed_size: 0
    .sgpr_count:     41
    .sgpr_spill_count: 0
    .symbol:         _ZN2ck35kernel_gemm_multiple_d_xdl_cshuffleINS_34GridwiseGemmMultipleD_xdl_cshuffleIDF16_DF16_DF16_ffNS_5TupleIJDF16_EEEDF16_NS_16tensor_operation12element_wise11PassThroughES6_12AlphaBetaAddLi1ELi256ELi256ELi128ELi32ELi8ELi8ELi16ELi16ELi8ELi2ENS_8SequenceIJLi4ELi64ELi1EEEENS8_IJLi1ELi0ELi2EEEESA_Li2ELi8ELi8ELb0ELi1ES9_SA_SA_Li2ELi8ELi8ELb0ELi1ELi1ELi1ENS8_IJLi1ELi32ELi1ELi8EEEELi4ELNS_13LoopSchedulerE0ELNS_15PipelineVersionE0EDF16_Lb0EEEDF16_DF16_NS2_IJPKDF16_EEEDF16_S6_S6_S7_NS_16TensorDescriptorINS2_IJNS_5EmbedINS2_IJiiEEENS2_IJiNS_17integral_constantIiLi1EEEEEELb0EEENS_8RightPadIiiLb0EEESQ_NS_7UnMergeINS2_IJiNSL_IiLi8EEEEEELb0EEENS_11PassThroughIiEEEEENS2_IJNS8_IJLi0EEEENS8_IJLi1EEEENS8_IJLi2EEEENS8_IJLi4EEEENS8_IJLi3EEEEEEENS2_IJNS8_IJLi1ELi2EEEES12_S11_NS8_IJLi5ELi6EEEENS8_IJLi7EEEEEEENS8_IJLi5ELi7ELi6EEEElEES19_NS2_IJNSI_INS2_IJSO_SQ_SQ_NSR_INS2_IJiNSL_IiLi256EEEEEELb0EEENSR_INS2_IJiNSL_IiLi128EEEEEELb0EEEEEENS2_IJSY_SZ_S10_S12_S11_EEENS2_IJS14_S12_S11_S15_NS8_IJLi7ELi8EEEEEEENS8_IJLi5ELi6ELi7ELi8EEEElEEEEES1L_NS_31BlockToCTileMap_M00_N0_M01AdaptILi256ELi128ENSI_INS2_IJSO_SQ_SQ_EEENS2_IJSY_SZ_S10_EEENS2_IJS14_S12_S11_EEENS8_IJLi3ELi4EEEElEEiEELb1EEEvPKT0_PKT1_T2_PT3_T4_T5_T6_T7_T8_T9_T10_T11_.kd
    .uniform_work_group_size: 1
    .uses_dynamic_stack: false
    .vgpr_count:     192
    .vgpr_spill_count: 0
    .wavefront_size: 32
    .workgroup_processor_mode: 1
  - .args:
      - .actual_access:  read_only
        .address_space:  global
        .offset:         0
        .size:           8
        .value_kind:     global_buffer
      - .actual_access:  read_only
        .address_space:  global
        .offset:         8
        .size:           8
        .value_kind:     global_buffer
      - .address_space:  global
        .offset:         16
        .size:           8
        .value_kind:     global_buffer
      - .actual_access:  write_only
        .address_space:  global
        .offset:         24
        .size:           8
        .value_kind:     global_buffer
      - .offset:         32
        .size:           1
        .value_kind:     by_value
      - .offset:         33
        .size:           1
        .value_kind:     by_value
      - .offset:         36
        .size:           8
        .value_kind:     by_value
      - .offset:         48
        .size:           72
        .value_kind:     by_value
      - .offset:         120
        .size:           72
        .value_kind:     by_value
      - .offset:         192
        .size:           80
        .value_kind:     by_value
      - .offset:         272
        .size:           80
        .value_kind:     by_value
      - .offset:         352
        .size:           12
        .value_kind:     by_value
    .group_segment_fixed_size: 24672
    .kernarg_segment_align: 8
    .kernarg_segment_size: 364
    .language:       OpenCL C
    .language_version:
      - 2
      - 0
    .max_flat_workgroup_size: 256
    .name:           _ZN2ck35kernel_gemm_multiple_d_xdl_cshuffleINS_34GridwiseGemmMultipleD_xdl_cshuffleIDF16_DF16_DF16_ffNS_5TupleIJDF16_EEEDF16_NS_16tensor_operation12element_wise11PassThroughES6_12AlphaBetaAddLi1ELi256ELi256ELi128ELi32ELi8ELi8ELi16ELi16ELi8ELi2ENS_8SequenceIJLi4ELi64ELi1EEEENS8_IJLi1ELi0ELi2EEEESA_Li2ELi8ELi8ELb0ELi1ES9_SA_SA_Li2ELi8ELi8ELb0ELi1ELi1ELi1ENS8_IJLi1ELi32ELi1ELi8EEEELi4ELNS_13LoopSchedulerE0ELNS_15PipelineVersionE0EDF16_Lb0EEEDF16_DF16_NS2_IJPKDF16_EEEDF16_S6_S6_S7_NS_16TensorDescriptorINS2_IJNS_5EmbedINS2_IJiiEEENS2_IJiNS_17integral_constantIiLi1EEEEEELb0EEENS_8RightPadIiiLb0EEESQ_NS_7UnMergeINS2_IJiNSL_IiLi8EEEEEELb0EEENS_11PassThroughIiEEEEENS2_IJNS8_IJLi0EEEENS8_IJLi1EEEENS8_IJLi2EEEENS8_IJLi4EEEENS8_IJLi3EEEEEEENS2_IJNS8_IJLi1ELi2EEEES12_S11_NS8_IJLi5ELi6EEEENS8_IJLi7EEEEEEENS8_IJLi5ELi7ELi6EEEElEES19_NS2_IJNSI_INS2_IJSO_SQ_SQ_NSR_INS2_IJiNSL_IiLi256EEEEEELb0EEENSR_INS2_IJiNSL_IiLi128EEEEEELb0EEEEEENS2_IJSY_SZ_S10_S12_S11_EEENS2_IJS14_S12_S11_S15_NS8_IJLi7ELi8EEEEEEENS8_IJLi5ELi6ELi7ELi8EEEElEEEEES1L_NS_31BlockToCTileMap_M00_N0_M01AdaptILi256ELi128ENSI_INS2_IJSO_SQ_SQ_EEENS2_IJSY_SZ_S10_EEENS2_IJS14_S12_S11_EEENS8_IJLi3ELi4EEEElEEiEELb0EEEvPKT0_PKT1_T2_PT3_T4_T5_T6_T7_T8_T9_T10_T11_
    .private_segment_fixed_size: 0
    .sgpr_count:     31
    .sgpr_spill_count: 0
    .symbol:         _ZN2ck35kernel_gemm_multiple_d_xdl_cshuffleINS_34GridwiseGemmMultipleD_xdl_cshuffleIDF16_DF16_DF16_ffNS_5TupleIJDF16_EEEDF16_NS_16tensor_operation12element_wise11PassThroughES6_12AlphaBetaAddLi1ELi256ELi256ELi128ELi32ELi8ELi8ELi16ELi16ELi8ELi2ENS_8SequenceIJLi4ELi64ELi1EEEENS8_IJLi1ELi0ELi2EEEESA_Li2ELi8ELi8ELb0ELi1ES9_SA_SA_Li2ELi8ELi8ELb0ELi1ELi1ELi1ENS8_IJLi1ELi32ELi1ELi8EEEELi4ELNS_13LoopSchedulerE0ELNS_15PipelineVersionE0EDF16_Lb0EEEDF16_DF16_NS2_IJPKDF16_EEEDF16_S6_S6_S7_NS_16TensorDescriptorINS2_IJNS_5EmbedINS2_IJiiEEENS2_IJiNS_17integral_constantIiLi1EEEEEELb0EEENS_8RightPadIiiLb0EEESQ_NS_7UnMergeINS2_IJiNSL_IiLi8EEEEEELb0EEENS_11PassThroughIiEEEEENS2_IJNS8_IJLi0EEEENS8_IJLi1EEEENS8_IJLi2EEEENS8_IJLi4EEEENS8_IJLi3EEEEEEENS2_IJNS8_IJLi1ELi2EEEES12_S11_NS8_IJLi5ELi6EEEENS8_IJLi7EEEEEEENS8_IJLi5ELi7ELi6EEEElEES19_NS2_IJNSI_INS2_IJSO_SQ_SQ_NSR_INS2_IJiNSL_IiLi256EEEEEELb0EEENSR_INS2_IJiNSL_IiLi128EEEEEELb0EEEEEENS2_IJSY_SZ_S10_S12_S11_EEENS2_IJS14_S12_S11_S15_NS8_IJLi7ELi8EEEEEEENS8_IJLi5ELi6ELi7ELi8EEEElEEEEES1L_NS_31BlockToCTileMap_M00_N0_M01AdaptILi256ELi128ENSI_INS2_IJSO_SQ_SQ_EEENS2_IJSY_SZ_S10_EEENS2_IJS14_S12_S11_EEENS8_IJLi3ELi4EEEElEEiEELb0EEEvPKT0_PKT1_T2_PT3_T4_T5_T6_T7_T8_T9_T10_T11_.kd
    .uniform_work_group_size: 1
    .uses_dynamic_stack: false
    .vgpr_count:     111
    .vgpr_spill_count: 0
    .wavefront_size: 32
    .workgroup_processor_mode: 1
amdhsa.target:   amdgcn-amd-amdhsa--gfx1201
amdhsa.version:
  - 1
  - 2
...

	.end_amdgpu_metadata
